;; amdgpu-corpus repo=ROCm/rocFFT kind=compiled arch=gfx950 opt=O3
	.text
	.amdgcn_target "amdgcn-amd-amdhsa--gfx950"
	.amdhsa_code_object_version 6
	.protected	bluestein_single_back_len1014_dim1_dp_op_CI_CI ; -- Begin function bluestein_single_back_len1014_dim1_dp_op_CI_CI
	.globl	bluestein_single_back_len1014_dim1_dp_op_CI_CI
	.p2align	8
	.type	bluestein_single_back_len1014_dim1_dp_op_CI_CI,@function
bluestein_single_back_len1014_dim1_dp_op_CI_CI: ; @bluestein_single_back_len1014_dim1_dp_op_CI_CI
; %bb.0:
	s_load_dwordx4 s[16:19], s[0:1], 0x28
	v_mul_u32_u24_e32 v1, 0x349, v0
	v_lshrrev_b32_e32 v80, 16, v1
	v_lshl_add_u32 v8, s2, 1, v80
	v_mov_b32_e32 v9, 0
	s_waitcnt lgkmcnt(0)
	v_cmp_gt_u64_e32 vcc, s[16:17], v[8:9]
	s_and_saveexec_b64 s[2:3], vcc
	s_cbranch_execz .LBB0_10
; %bb.1:
	s_load_dwordx4 s[12:15], s[0:1], 0x18
	s_load_dwordx4 s[8:11], s[0:1], 0x0
	v_mul_lo_u16_e32 v1, 0x4e, v80
	v_sub_u16_e32 v232, v0, v1
	v_mov_b32_e32 v2, s18
	s_waitcnt lgkmcnt(0)
	s_load_dwordx4 s[4:7], s[12:13], 0x0
	v_mov_b32_e32 v3, s19
	v_lshlrev_b32_e32 v184, 4, v232
	v_accvgpr_write_b32 a0, v8
	v_mov_b32_e32 v185, v9
	s_waitcnt lgkmcnt(0)
	v_mad_u64_u32 v[0:1], s[2:3], s6, v8, 0
	v_mov_b32_e32 v4, v1
	v_mad_u64_u32 v[4:5], s[2:3], s7, v8, v[4:5]
	v_mov_b32_e32 v1, v4
	v_mad_u64_u32 v[4:5], s[2:3], s4, v232, 0
	v_mov_b32_e32 v6, v5
	v_mad_u64_u32 v[6:7], s[2:3], s5, v232, v[6:7]
	v_mov_b32_e32 v5, v6
	v_lshl_add_u64 v[0:1], v[0:1], 4, v[2:3]
	v_lshl_add_u64 v[0:1], v[4:5], 4, v[0:1]
	v_mov_b32_e32 v6, 0x4e0
	global_load_dwordx4 v[52:55], v[0:1], off
	v_mad_u64_u32 v[0:1], s[2:3], s4, v6, v[0:1]
	s_mul_i32 s2, s5, 0x4e0
	s_nop 0
	v_add_u32_e32 v1, s2, v1
	v_mad_u64_u32 v[2:3], s[6:7], s4, v6, v[0:1]
	global_load_dwordx4 v[12:15], v184, s[8:9]
	global_load_dwordx4 v[8:11], v184, s[8:9] offset:1248
	v_add_u32_e32 v3, s2, v3
	global_load_dwordx4 v[60:63], v[0:1], off
	global_load_dwordx4 v[56:59], v[2:3], off
	v_mad_u64_u32 v[0:1], s[6:7], s4, v6, v[2:3]
	v_add_u32_e32 v1, s2, v1
	global_load_dwordx4 v[20:23], v184, s[8:9] offset:2496
	global_load_dwordx4 v[16:19], v184, s[8:9] offset:3744
	v_mad_u64_u32 v[2:3], s[6:7], s4, v6, v[0:1]
	v_add_u32_e32 v3, s2, v3
	v_lshl_add_u64 v[28:29], s[8:9], 0, v[184:185]
	global_load_dwordx4 v[68:71], v[0:1], off
	global_load_dwordx4 v[64:67], v[2:3], off
	s_movk_i32 s3, 0x1000
	v_mad_u64_u32 v[2:3], s[6:7], s4, v6, v[2:3]
	v_add_co_u32_e32 v0, vcc, s3, v28
	v_add_u32_e32 v3, s2, v3
	s_nop 0
	v_addc_co_u32_e32 v1, vcc, 0, v29, vcc
	global_load_dwordx4 v[72:75], v[2:3], off
	global_load_dwordx4 v[30:33], v[0:1], off offset:896
	global_load_dwordx4 v[24:27], v[0:1], off offset:2144
	v_mad_u64_u32 v[2:3], s[6:7], s4, v6, v[2:3]
	v_add_u32_e32 v3, s2, v3
	global_load_dwordx4 v[76:79], v[2:3], off
	v_mad_u64_u32 v[2:3], s[6:7], s4, v6, v[2:3]
	s_movk_i32 s3, 0x2000
	v_add_u32_e32 v3, s2, v3
	v_add_co_u32_e32 v4, vcc, s3, v28
	global_load_dwordx4 v[82:85], v[2:3], off
	s_nop 0
	v_addc_co_u32_e32 v5, vcc, 0, v29, vcc
	global_load_dwordx4 v[36:39], v[0:1], off offset:3392
	global_load_dwordx4 v[110:113], v[4:5], off offset:544
	v_mad_u64_u32 v[0:1], s[6:7], s4, v6, v[2:3]
	v_add_u32_e32 v1, s2, v1
	global_load_dwordx4 v[86:89], v[0:1], off
	v_mad_u64_u32 v[0:1], s[6:7], s4, v6, v[0:1]
	v_add_u32_e32 v1, s2, v1
	global_load_dwordx4 v[90:93], v[0:1], off
	global_load_dwordx4 v[44:47], v[4:5], off offset:1792
	global_load_dwordx4 v[118:121], v[4:5], off offset:3040
	s_movk_i32 s3, 0x3000
	v_mad_u64_u32 v[0:1], s[6:7], s4, v6, v[0:1]
	v_add_co_u32_e32 v2, vcc, s3, v28
	v_add_u32_e32 v1, s2, v1
	s_nop 0
	v_addc_co_u32_e32 v3, vcc, 0, v29, vcc
	global_load_dwordx4 v[94:97], v[0:1], off
	global_load_dwordx4 v[114:117], v[2:3], off offset:192
	v_mad_u64_u32 v[0:1], s[6:7], s4, v6, v[0:1]
	v_add_u32_e32 v1, s2, v1
	global_load_dwordx4 v[98:101], v[0:1], off
	global_load_dwordx4 v[40:43], v[2:3], off offset:1440
	v_mad_u64_u32 v[0:1], s[4:5], s4, v6, v[0:1]
	v_add_u32_e32 v1, s2, v1
	global_load_dwordx4 v[102:105], v[0:1], off
	global_load_dwordx4 v[48:51], v[2:3], off offset:2688
	v_and_b32_e32 v0, 1, v80
	v_mov_b32_e32 v1, 0x3f60
	v_cmp_eq_u32_e32 vcc, 1, v0
	s_load_dwordx2 s[2:3], s[0:1], 0x38
	s_load_dwordx4 s[4:7], s[14:15], 0x0
	v_cndmask_b32_e32 v239, 0, v1, vcc
	v_add_u32_e32 v233, v239, v184
	s_mov_b32 s34, 0x42a4c3d2
	s_mov_b32 s36, 0x66966769
	s_mov_b32 s14, 0x2ef20147
	s_mov_b32 s24, 0x24c2f84
	s_mov_b32 s30, 0x4bc48dbf
	s_mov_b32 s27, 0xbfddbe06
	s_mov_b32 s26, 0x4267c47c
	s_mov_b32 s35, 0xbfea55e2
	s_mov_b32 s37, 0xbfefc445
	s_mov_b32 s15, 0xbfedeba7
	s_mov_b32 s25, 0xbfe5384d
	s_mov_b32 s31, 0xbfcea1e5
	s_waitcnt vmcnt(24)
	v_mul_f64 v[106:107], v[54:55], v[14:15]
	v_mul_f64 v[0:1], v[52:53], v[14:15]
	v_fmac_f64_e32 v[106:107], v[52:53], v[12:13]
	v_fma_f64 v[108:109], v[54:55], v[12:13], -v[0:1]
	s_waitcnt vmcnt(22)
	v_mul_f64 v[52:53], v[62:63], v[10:11]
	v_mul_f64 v[0:1], v[60:61], v[10:11]
	v_fmac_f64_e32 v[52:53], v[60:61], v[8:9]
	v_fma_f64 v[54:55], v[62:63], v[8:9], -v[0:1]
	ds_write_b128 v233, v[52:55] offset:1248
	s_waitcnt vmcnt(20)
	v_mul_f64 v[52:53], v[58:59], v[22:23]
	v_mul_f64 v[0:1], v[56:57], v[22:23]
	v_fmac_f64_e32 v[52:53], v[56:57], v[20:21]
	v_fma_f64 v[54:55], v[58:59], v[20:21], -v[0:1]
	ds_write_b128 v233, v[52:55] offset:2496
	;; [unrolled: 6-line block ×3, first 2 shown]
	ds_write_b128 v233, v[106:109]
	s_waitcnt vmcnt(15)
	v_mul_f64 v[52:53], v[66:67], v[32:33]
	v_mul_f64 v[0:1], v[64:65], v[32:33]
	v_fmac_f64_e32 v[52:53], v[64:65], v[30:31]
	v_fma_f64 v[54:55], v[66:67], v[30:31], -v[0:1]
	ds_write_b128 v233, v[52:55] offset:4992
	s_waitcnt vmcnt(14)
	v_mul_f64 v[52:53], v[74:75], v[26:27]
	v_mul_f64 v[0:1], v[72:73], v[26:27]
	v_fmac_f64_e32 v[52:53], v[72:73], v[24:25]
	v_fma_f64 v[54:55], v[74:75], v[24:25], -v[0:1]
	ds_write_b128 v233, v[52:55] offset:6240
	s_mov_b32 s28, 0x93053d00
	s_mov_b32 s20, 0xe00740e9
	;; [unrolled: 1-line block ×4, first 2 shown]
	s_waitcnt vmcnt(11)
	v_mul_f64 v[52:53], v[78:79], v[38:39]
	v_mul_f64 v[0:1], v[76:77], v[38:39]
	v_fmac_f64_e32 v[52:53], v[76:77], v[36:37]
	v_fma_f64 v[54:55], v[78:79], v[36:37], -v[0:1]
	ds_write_b128 v233, v[52:55] offset:7488
	s_waitcnt vmcnt(10)
	v_mul_f64 v[52:53], v[84:85], v[112:113]
	v_mul_f64 v[0:1], v[82:83], v[112:113]
	v_fmac_f64_e32 v[52:53], v[82:83], v[110:111]
	v_fma_f64 v[54:55], v[84:85], v[110:111], -v[0:1]
	ds_write_b128 v233, v[52:55] offset:8736
	;; [unrolled: 6-line block ×7, first 2 shown]
	s_waitcnt lgkmcnt(0)
	s_barrier
	ds_read_b128 v[92:95], v233
	ds_read_b128 v[96:99], v233 offset:1248
	ds_read_b128 v[88:91], v233 offset:2496
	;; [unrolled: 1-line block ×12, first 2 shown]
	s_waitcnt lgkmcnt(11)
	v_add_f64 v[0:1], v[92:93], v[96:97]
	s_waitcnt lgkmcnt(10)
	v_add_f64 v[0:1], v[0:1], v[88:89]
	v_add_f64 v[2:3], v[94:95], v[98:99]
	s_waitcnt lgkmcnt(9)
	v_add_f64 v[0:1], v[0:1], v[80:81]
	;; [unrolled: 3-line block ×9, first 2 shown]
	v_accvgpr_write_b32 a30, v114
	v_add_f64 v[2:3], v[2:3], v[78:79]
	s_waitcnt lgkmcnt(1)
	v_add_f64 v[0:1], v[0:1], v[100:101]
	s_waitcnt lgkmcnt(0)
	v_add_f64 v[6:7], v[98:99], -v[106:107]
	v_accvgpr_write_b32 a31, v115
	v_accvgpr_write_b32 a32, v116
	;; [unrolled: 1-line block ×3, first 2 shown]
	v_add_f64 v[2:3], v[2:3], v[86:87]
	v_add_f64 v[52:53], v[0:1], v[104:105]
	v_add_f64 v[0:1], v[96:97], v[104:105]
	v_add_f64 v[4:5], v[96:97], -v[104:105]
	v_mul_f64 v[96:97], v[6:7], s[26:27]
	v_mul_f64 v[108:109], v[6:7], s[34:35]
	;; [unrolled: 1-line block ×4, first 2 shown]
	s_mov_b32 s12, 0xb2365da1
	v_mul_f64 v[132:133], v[6:7], s[24:25]
	s_mov_b32 s18, 0xd0032e0c
	v_mul_f64 v[6:7], v[6:7], s[30:31]
	s_mov_b32 s29, 0xbfef11f4
	v_accvgpr_write_b32 a26, v110
	v_accvgpr_write_b32 a34, v118
	v_add_f64 v[2:3], v[2:3], v[102:103]
	s_mov_b32 s21, 0x3fec55a7
	s_mov_b32 s17, 0x3fe22d96
	;; [unrolled: 1-line block ×5, first 2 shown]
	v_fma_f64 v[140:141], v[0:1], s[28:29], -v[6:7]
	v_fmac_f64_e32 v[6:7], s[28:29], v[0:1]
	v_accvgpr_write_b32 a27, v111
	v_accvgpr_write_b32 a28, v112
	;; [unrolled: 1-line block ×6, first 2 shown]
	v_add_f64 v[54:55], v[2:3], v[106:107]
	v_add_f64 v[2:3], v[98:99], v[106:107]
	v_fma_f64 v[98:99], v[0:1], s[20:21], -v[96:97]
	v_mul_f64 v[104:105], v[4:5], s[26:27]
	v_fmac_f64_e32 v[96:97], s[20:21], v[0:1]
	v_fma_f64 v[110:111], v[0:1], s[16:17], -v[108:109]
	v_mul_f64 v[112:113], v[4:5], s[34:35]
	v_fmac_f64_e32 v[108:109], s[16:17], v[0:1]
	;; [unrolled: 3-line block ×5, first 2 shown]
	v_mul_f64 v[4:5], v[4:5], s[30:31]
	v_add_f64 v[0:1], v[92:93], v[6:7]
	v_add_f64 v[6:7], v[90:91], v[102:103]
	v_add_f64 v[90:91], v[90:91], -v[102:103]
	v_add_f64 v[98:99], v[92:93], v[98:99]
	v_fma_f64 v[106:107], s[20:21], v[2:3], v[104:105]
	v_add_f64 v[96:97], v[92:93], v[96:97]
	v_fma_f64 v[104:105], v[2:3], s[20:21], -v[104:105]
	v_add_f64 v[110:111], v[92:93], v[110:111]
	v_fma_f64 v[114:115], s[16:17], v[2:3], v[112:113]
	v_add_f64 v[108:109], v[92:93], v[108:109]
	v_fma_f64 v[112:113], v[2:3], s[16:17], -v[112:113]
	;; [unrolled: 4-line block ×5, first 2 shown]
	v_add_f64 v[140:141], v[92:93], v[140:141]
	v_fma_f64 v[142:143], s[28:29], v[2:3], v[4:5]
	v_fma_f64 v[2:3], v[2:3], s[28:29], -v[4:5]
	v_add_f64 v[4:5], v[88:89], v[100:101]
	v_mul_f64 v[92:93], v[90:91], s[34:35]
	v_add_f64 v[106:107], v[94:95], v[106:107]
	v_add_f64 v[104:105], v[94:95], v[104:105]
	;; [unrolled: 1-line block ×12, first 2 shown]
	v_add_f64 v[88:89], v[88:89], -v[100:101]
	v_fma_f64 v[94:95], v[4:5], s[16:17], -v[92:93]
	v_add_f64 v[94:95], v[94:95], v[98:99]
	v_mul_f64 v[98:99], v[88:89], s[34:35]
	v_fmac_f64_e32 v[92:93], s[16:17], v[4:5]
	v_fma_f64 v[100:101], s[16:17], v[6:7], v[98:99]
	v_add_f64 v[92:93], v[92:93], v[96:97]
	v_fma_f64 v[96:97], v[6:7], s[16:17], -v[98:99]
	v_mul_f64 v[98:99], v[90:91], s[14:15]
	v_add_f64 v[96:97], v[96:97], v[104:105]
	v_fma_f64 v[102:103], v[4:5], s[12:13], -v[98:99]
	v_mul_f64 v[104:105], v[88:89], s[14:15]
	v_fmac_f64_e32 v[98:99], s[12:13], v[4:5]
	v_add_f64 v[100:101], v[100:101], v[106:107]
	v_fma_f64 v[106:107], s[12:13], v[6:7], v[104:105]
	v_add_f64 v[98:99], v[98:99], v[108:109]
	v_fma_f64 v[104:105], v[6:7], s[12:13], -v[104:105]
	v_mul_f64 v[108:109], v[90:91], s[30:31]
	v_add_f64 v[102:103], v[102:103], v[110:111]
	v_add_f64 v[104:105], v[104:105], v[112:113]
	v_fma_f64 v[110:111], v[4:5], s[28:29], -v[108:109]
	v_mul_f64 v[112:113], v[88:89], s[30:31]
	v_fmac_f64_e32 v[108:109], s[28:29], v[4:5]
	s_mov_b32 s39, 0x3fe5384d
	s_mov_b32 s38, s24
	v_add_f64 v[106:107], v[106:107], v[114:115]
	v_fma_f64 v[114:115], s[28:29], v[6:7], v[112:113]
	v_add_f64 v[108:109], v[108:109], v[116:117]
	v_fma_f64 v[112:113], v[6:7], s[28:29], -v[112:113]
	v_mul_f64 v[116:117], v[90:91], s[38:39]
	v_add_f64 v[110:111], v[110:111], v[118:119]
	v_add_f64 v[112:113], v[112:113], v[120:121]
	v_fma_f64 v[118:119], v[4:5], s[18:19], -v[116:117]
	v_mul_f64 v[120:121], v[88:89], s[38:39]
	v_fmac_f64_e32 v[116:117], s[18:19], v[4:5]
	s_mov_b32 s23, 0x3fefc445
	s_mov_b32 s22, s36
	v_add_f64 v[114:115], v[114:115], v[122:123]
	v_fma_f64 v[122:123], s[18:19], v[6:7], v[120:121]
	v_add_f64 v[116:117], v[116:117], v[124:125]
	v_fma_f64 v[120:121], v[6:7], s[18:19], -v[120:121]
	v_mul_f64 v[124:125], v[90:91], s[22:23]
	s_mov_b32 s27, 0x3fddbe06
	v_add_f64 v[118:119], v[118:119], v[126:127]
	v_add_f64 v[120:121], v[120:121], v[128:129]
	v_fma_f64 v[126:127], v[4:5], s[0:1], -v[124:125]
	v_mul_f64 v[128:129], v[88:89], s[22:23]
	v_fmac_f64_e32 v[124:125], s[0:1], v[4:5]
	v_mul_f64 v[90:91], v[90:91], s[26:27]
	v_mul_f64 v[88:89], v[88:89], s[26:27]
	v_add_f64 v[122:123], v[122:123], v[130:131]
	v_add_f64 v[126:127], v[126:127], v[134:135]
	v_fma_f64 v[130:131], s[0:1], v[6:7], v[128:129]
	v_add_f64 v[124:125], v[124:125], v[132:133]
	v_fma_f64 v[128:129], v[6:7], s[0:1], -v[128:129]
	v_fma_f64 v[132:133], v[4:5], s[20:21], -v[90:91]
	v_fma_f64 v[134:135], s[20:21], v[6:7], v[88:89]
	v_fmac_f64_e32 v[90:91], s[20:21], v[4:5]
	v_fma_f64 v[4:5], v[6:7], s[20:21], -v[88:89]
	v_add_f64 v[6:7], v[82:83], v[86:87]
	v_add_f64 v[82:83], v[82:83], -v[86:87]
	v_add_f64 v[2:3], v[4:5], v[2:3]
	v_add_f64 v[4:5], v[80:81], v[84:85]
	v_add_f64 v[80:81], v[80:81], -v[84:85]
	v_mul_f64 v[84:85], v[82:83], s[36:37]
	v_fma_f64 v[86:87], v[4:5], s[0:1], -v[84:85]
	v_mul_f64 v[88:89], v[80:81], s[36:37]
	v_fmac_f64_e32 v[84:85], s[0:1], v[4:5]
	v_add_f64 v[0:1], v[90:91], v[0:1]
	v_fma_f64 v[90:91], s[0:1], v[6:7], v[88:89]
	v_add_f64 v[84:85], v[84:85], v[92:93]
	v_fma_f64 v[88:89], v[6:7], s[0:1], -v[88:89]
	v_mul_f64 v[92:93], v[82:83], s[30:31]
	v_add_f64 v[86:87], v[86:87], v[94:95]
	v_add_f64 v[88:89], v[88:89], v[96:97]
	v_fma_f64 v[94:95], v[4:5], s[28:29], -v[92:93]
	v_mul_f64 v[96:97], v[80:81], s[30:31]
	v_fmac_f64_e32 v[92:93], s[28:29], v[4:5]
	s_mov_b32 s41, 0x3fedeba7
	s_mov_b32 s40, s14
	v_add_f64 v[90:91], v[90:91], v[100:101]
	v_fma_f64 v[100:101], s[28:29], v[6:7], v[96:97]
	v_add_f64 v[92:93], v[92:93], v[98:99]
	v_fma_f64 v[96:97], v[6:7], s[28:29], -v[96:97]
	v_mul_f64 v[98:99], v[82:83], s[40:41]
	v_add_f64 v[94:95], v[94:95], v[102:103]
	v_add_f64 v[96:97], v[96:97], v[104:105]
	v_fma_f64 v[102:103], v[4:5], s[12:13], -v[98:99]
	v_mul_f64 v[104:105], v[80:81], s[40:41]
	v_fmac_f64_e32 v[98:99], s[12:13], v[4:5]
	v_add_f64 v[100:101], v[100:101], v[106:107]
	v_fma_f64 v[106:107], s[12:13], v[6:7], v[104:105]
	v_add_f64 v[98:99], v[98:99], v[108:109]
	v_fma_f64 v[104:105], v[6:7], s[12:13], -v[104:105]
	v_mul_f64 v[108:109], v[82:83], s[26:27]
	v_add_f64 v[102:103], v[102:103], v[110:111]
	v_add_f64 v[104:105], v[104:105], v[112:113]
	v_fma_f64 v[110:111], v[4:5], s[20:21], -v[108:109]
	v_mul_f64 v[112:113], v[80:81], s[26:27]
	v_fmac_f64_e32 v[108:109], s[20:21], v[4:5]
	v_add_f64 v[106:107], v[106:107], v[114:115]
	v_fma_f64 v[114:115], s[20:21], v[6:7], v[112:113]
	v_add_f64 v[108:109], v[108:109], v[116:117]
	v_fma_f64 v[112:113], v[6:7], s[20:21], -v[112:113]
	v_mul_f64 v[116:117], v[82:83], s[34:35]
	v_add_f64 v[110:111], v[110:111], v[118:119]
	v_add_f64 v[112:113], v[112:113], v[120:121]
	v_fma_f64 v[118:119], v[4:5], s[16:17], -v[116:117]
	v_mul_f64 v[120:121], v[80:81], s[34:35]
	v_fmac_f64_e32 v[116:117], s[16:17], v[4:5]
	v_mul_f64 v[82:83], v[82:83], s[24:25]
	v_mul_f64 v[80:81], v[80:81], s[24:25]
	v_add_f64 v[114:115], v[114:115], v[122:123]
	v_add_f64 v[118:119], v[118:119], v[126:127]
	v_fma_f64 v[122:123], s[16:17], v[6:7], v[120:121]
	v_add_f64 v[116:117], v[116:117], v[124:125]
	v_fma_f64 v[120:121], v[6:7], s[16:17], -v[120:121]
	v_fma_f64 v[124:125], v[4:5], s[18:19], -v[82:83]
	v_fma_f64 v[126:127], s[18:19], v[6:7], v[80:81]
	v_fmac_f64_e32 v[82:83], s[18:19], v[4:5]
	v_fma_f64 v[4:5], v[6:7], s[18:19], -v[80:81]
	v_add_f64 v[6:7], v[74:75], v[78:79]
	v_add_f64 v[74:75], v[74:75], -v[78:79]
	v_add_f64 v[2:3], v[4:5], v[2:3]
	v_add_f64 v[4:5], v[72:73], v[76:77]
	v_add_f64 v[72:73], v[72:73], -v[76:77]
	v_mul_f64 v[76:77], v[74:75], s[14:15]
	v_fma_f64 v[78:79], v[4:5], s[12:13], -v[76:77]
	v_fmac_f64_e32 v[76:77], s[12:13], v[4:5]
	v_add_f64 v[76:77], v[76:77], v[84:85]
	v_mul_f64 v[84:85], v[74:75], s[38:39]
	v_add_f64 v[78:79], v[78:79], v[86:87]
	v_fma_f64 v[86:87], v[4:5], s[18:19], -v[84:85]
	v_fmac_f64_e32 v[84:85], s[18:19], v[4:5]
	v_add_f64 v[84:85], v[84:85], v[92:93]
	v_mul_f64 v[92:93], v[74:75], s[26:27]
	v_mul_f64 v[80:81], v[72:73], s[14:15]
	v_add_f64 v[86:87], v[86:87], v[94:95]
	v_fma_f64 v[94:95], v[4:5], s[20:21], -v[92:93]
	v_fmac_f64_e32 v[92:93], s[20:21], v[4:5]
	v_add_f64 v[0:1], v[82:83], v[0:1]
	v_fma_f64 v[82:83], s[12:13], v[6:7], v[80:81]
	v_fma_f64 v[80:81], v[6:7], s[12:13], -v[80:81]
	v_add_f64 v[92:93], v[92:93], v[98:99]
	v_mul_f64 v[98:99], v[74:75], s[36:37]
	v_add_f64 v[128:129], v[128:129], v[136:137]
	v_add_f64 v[80:81], v[80:81], v[88:89]
	v_mul_f64 v[88:89], v[72:73], s[38:39]
	v_add_f64 v[94:95], v[94:95], v[102:103]
	v_fma_f64 v[102:103], v[4:5], s[0:1], -v[98:99]
	v_add_f64 v[130:131], v[130:131], v[138:139]
	v_add_f64 v[120:121], v[120:121], v[128:129]
	v_add_f64 v[82:83], v[82:83], v[90:91]
	v_fma_f64 v[90:91], s[18:19], v[6:7], v[88:89]
	v_fma_f64 v[88:89], v[6:7], s[18:19], -v[88:89]
	v_add_f64 v[128:129], v[102:103], v[110:111]
	v_mul_f64 v[102:103], v[72:73], s[36:37]
	v_fmac_f64_e32 v[98:99], s[0:1], v[4:5]
	v_add_f64 v[122:123], v[122:123], v[130:131]
	v_add_f64 v[88:89], v[88:89], v[96:97]
	v_mul_f64 v[96:97], v[72:73], s[26:27]
	v_add_f64 v[130:131], v[98:99], v[108:109]
	v_fma_f64 v[98:99], v[6:7], s[0:1], -v[102:103]
	s_mov_b32 s39, 0x3fcea1e5
	s_mov_b32 s38, s30
	v_add_f64 v[90:91], v[90:91], v[100:101]
	v_fma_f64 v[100:101], s[20:21], v[6:7], v[96:97]
	v_fma_f64 v[96:97], v[6:7], s[20:21], -v[96:97]
	v_add_f64 v[112:113], v[98:99], v[112:113]
	v_mul_f64 v[98:99], v[74:75], s[38:39]
	v_add_f64 v[96:97], v[96:97], v[104:105]
	v_fma_f64 v[104:105], s[0:1], v[6:7], v[102:103]
	v_fma_f64 v[102:103], v[4:5], s[28:29], -v[98:99]
	v_add_f64 v[118:119], v[102:103], v[118:119]
	v_mul_f64 v[102:103], v[72:73], s[38:39]
	v_fmac_f64_e32 v[98:99], s[28:29], v[4:5]
	s_mov_b32 s37, 0x3fea55e2
	s_mov_b32 s36, s34
	v_add_f64 v[132:133], v[132:133], v[140:141]
	v_add_f64 v[116:117], v[98:99], v[116:117]
	v_fma_f64 v[98:99], v[6:7], s[28:29], -v[102:103]
	v_mul_f64 v[74:75], v[74:75], s[36:37]
	v_add_f64 v[124:125], v[124:125], v[132:133]
	v_add_f64 v[120:121], v[98:99], v[120:121]
	v_fma_f64 v[98:99], v[4:5], s[16:17], -v[74:75]
	v_mul_f64 v[72:73], v[72:73], s[36:37]
	v_add_f64 v[114:115], v[104:105], v[114:115]
	v_fma_f64 v[104:105], s[28:29], v[6:7], v[102:103]
	v_add_f64 v[124:125], v[98:99], v[124:125]
	v_fma_f64 v[98:99], s[16:17], v[6:7], v[72:73]
	v_fmac_f64_e32 v[74:75], s[16:17], v[4:5]
	v_fma_f64 v[4:5], v[6:7], s[16:17], -v[72:73]
	v_add_f64 v[6:7], v[66:67], v[70:71]
	v_add_f64 v[70:71], v[66:67], -v[70:71]
	v_add_f64 v[2:3], v[4:5], v[2:3]
	v_add_f64 v[4:5], v[64:65], v[68:69]
	v_add_f64 v[68:69], v[64:65], -v[68:69]
	v_mul_f64 v[64:65], v[70:71], s[24:25]
	v_fma_f64 v[66:67], v[4:5], s[18:19], -v[64:65]
	v_add_f64 v[132:133], v[66:67], v[78:79]
	v_mul_f64 v[66:67], v[68:69], s[24:25]
	v_add_f64 v[134:135], v[134:135], v[142:143]
	v_fma_f64 v[72:73], s[18:19], v[6:7], v[66:67]
	v_fmac_f64_e32 v[64:65], s[18:19], v[4:5]
	v_add_f64 v[126:127], v[126:127], v[134:135]
	v_add_f64 v[134:135], v[72:73], v[82:83]
	;; [unrolled: 1-line block ×3, first 2 shown]
	v_fma_f64 v[64:65], v[6:7], s[18:19], -v[66:67]
	v_mul_f64 v[72:73], v[70:71], s[22:23]
	v_add_f64 v[0:1], v[74:75], v[0:1]
	v_add_f64 v[138:139], v[64:65], v[80:81]
	v_fma_f64 v[64:65], v[4:5], s[0:1], -v[72:73]
	v_mul_f64 v[74:75], v[68:69], s[22:23]
	v_fmac_f64_e32 v[72:73], s[0:1], v[4:5]
	v_add_f64 v[110:111], v[72:73], v[84:85]
	v_fma_f64 v[72:73], v[6:7], s[0:1], -v[74:75]
	v_add_f64 v[108:109], v[72:73], v[88:89]
	v_mul_f64 v[72:73], v[70:71], s[34:35]
	v_fma_f64 v[66:67], s[0:1], v[6:7], v[74:75]
	v_fma_f64 v[74:75], v[4:5], s[16:17], -v[72:73]
	v_add_f64 v[100:101], v[100:101], v[106:107]
	v_add_f64 v[106:107], v[74:75], v[94:95]
	v_mul_f64 v[74:75], v[68:69], s[34:35]
	v_fmac_f64_e32 v[72:73], s[16:17], v[4:5]
	v_fma_f64 v[76:77], s[16:17], v[6:7], v[74:75]
	v_add_f64 v[102:103], v[72:73], v[92:93]
	v_fma_f64 v[72:73], v[6:7], s[16:17], -v[74:75]
	v_add_f64 v[122:123], v[104:105], v[122:123]
	v_add_f64 v[104:105], v[76:77], v[100:101]
	;; [unrolled: 1-line block ×3, first 2 shown]
	v_mul_f64 v[72:73], v[70:71], s[38:39]
	v_fma_f64 v[74:75], v[4:5], s[28:29], -v[72:73]
	v_add_f64 v[126:127], v[98:99], v[126:127]
	v_add_f64 v[98:99], v[74:75], v[128:129]
	v_mul_f64 v[74:75], v[68:69], s[38:39]
	v_fmac_f64_e32 v[72:73], s[28:29], v[4:5]
	v_add_f64 v[94:95], v[72:73], v[130:131]
	v_fma_f64 v[72:73], v[6:7], s[28:29], -v[74:75]
	v_add_f64 v[92:93], v[72:73], v[112:113]
	v_mul_f64 v[72:73], v[70:71], s[26:27]
	v_fma_f64 v[76:77], s[28:29], v[6:7], v[74:75]
	v_fma_f64 v[74:75], v[4:5], s[20:21], -v[72:73]
	v_add_f64 v[64:65], v[64:65], v[86:87]
	v_add_f64 v[86:87], v[74:75], v[118:119]
	v_mul_f64 v[74:75], v[68:69], s[26:27]
	v_fmac_f64_e32 v[72:73], s[20:21], v[4:5]
	v_add_f64 v[96:97], v[76:77], v[114:115]
	v_fma_f64 v[76:77], s[20:21], v[6:7], v[74:75]
	v_add_f64 v[78:79], v[72:73], v[116:117]
	v_fma_f64 v[72:73], v[6:7], s[20:21], -v[74:75]
	v_mul_f64 v[70:71], v[70:71], s[14:15]
	v_add_f64 v[82:83], v[76:77], v[122:123]
	v_add_f64 v[76:77], v[72:73], v[120:121]
	v_fma_f64 v[72:73], v[4:5], s[12:13], -v[70:71]
	v_mul_f64 v[68:69], v[68:69], s[14:15]
	v_fmac_f64_e32 v[70:71], s[12:13], v[4:5]
	v_add_f64 v[66:67], v[66:67], v[90:91]
	v_add_f64 v[70:71], v[70:71], v[0:1]
	v_fma_f64 v[0:1], v[6:7], s[12:13], -v[68:69]
	v_add_f64 v[90:91], v[58:59], -v[62:63]
	v_add_f64 v[74:75], v[72:73], v[124:125]
	v_fma_f64 v[72:73], s[12:13], v[6:7], v[68:69]
	v_add_f64 v[68:69], v[0:1], v[2:3]
	v_add_f64 v[84:85], v[56:57], v[60:61]
	v_mul_f64 v[0:1], v[90:91], s[30:31]
	v_add_f64 v[88:89], v[56:57], -v[60:61]
	v_fma_f64 v[2:3], v[84:85], s[28:29], -v[0:1]
	v_add_f64 v[80:81], v[58:59], v[62:63]
	v_add_f64 v[56:57], v[2:3], v[132:133]
	v_mul_f64 v[2:3], v[88:89], s[30:31]
	v_fmac_f64_e32 v[0:1], s[28:29], v[84:85]
	v_add_f64 v[116:117], v[0:1], v[136:137]
	v_fma_f64 v[0:1], v[80:81], s[28:29], -v[2:3]
	v_add_f64 v[118:119], v[0:1], v[138:139]
	v_mul_f64 v[0:1], v[90:91], s[26:27]
	v_fma_f64 v[4:5], s[28:29], v[80:81], v[2:3]
	v_fma_f64 v[2:3], v[84:85], s[20:21], -v[0:1]
	v_add_f64 v[64:65], v[2:3], v[64:65]
	v_mul_f64 v[2:3], v[88:89], s[26:27]
	v_fmac_f64_e32 v[0:1], s[20:21], v[84:85]
	v_add_f64 v[60:61], v[0:1], v[110:111]
	v_fma_f64 v[0:1], v[80:81], s[20:21], -v[2:3]
	v_add_f64 v[62:63], v[0:1], v[108:109]
	v_mul_f64 v[0:1], v[90:91], s[24:25]
	v_add_f64 v[58:59], v[4:5], v[134:135]
	v_fma_f64 v[4:5], s[20:21], v[80:81], v[2:3]
	v_fma_f64 v[2:3], v[84:85], s[18:19], -v[0:1]
	v_add_f64 v[106:107], v[2:3], v[106:107]
	v_mul_f64 v[2:3], v[88:89], s[24:25]
	v_fmac_f64_e32 v[0:1], s[18:19], v[84:85]
	v_add_f64 v[66:67], v[4:5], v[66:67]
	v_fma_f64 v[4:5], s[18:19], v[80:81], v[2:3]
	v_add_f64 v[102:103], v[0:1], v[102:103]
	v_fma_f64 v[0:1], v[80:81], s[18:19], -v[2:3]
	v_add_f64 v[108:109], v[4:5], v[104:105]
	v_add_f64 v[104:105], v[0:1], v[100:101]
	v_mul_f64 v[0:1], v[90:91], s[36:37]
	v_fma_f64 v[2:3], v[84:85], s[16:17], -v[0:1]
	v_add_f64 v[98:99], v[2:3], v[98:99]
	v_mul_f64 v[2:3], v[88:89], s[36:37]
	v_fmac_f64_e32 v[0:1], s[16:17], v[84:85]
	v_fma_f64 v[4:5], s[16:17], v[80:81], v[2:3]
	v_add_f64 v[94:95], v[0:1], v[94:95]
	v_fma_f64 v[0:1], v[80:81], s[16:17], -v[2:3]
	v_add_f64 v[100:101], v[4:5], v[96:97]
	v_add_f64 v[96:97], v[0:1], v[92:93]
	v_mul_f64 v[0:1], v[90:91], s[14:15]
	v_fma_f64 v[2:3], v[84:85], s[12:13], -v[0:1]
	v_add_f64 v[110:111], v[2:3], v[86:87]
	v_mul_f64 v[2:3], v[88:89], s[14:15]
	v_fmac_f64_e32 v[0:1], s[12:13], v[84:85]
	v_add_f64 v[120:121], v[0:1], v[78:79]
	v_fma_f64 v[0:1], v[80:81], s[12:13], -v[2:3]
	v_add_f64 v[122:123], v[0:1], v[76:77]
	v_mul_f64 v[0:1], v[90:91], s[22:23]
	v_fma_f64 v[4:5], s[12:13], v[80:81], v[2:3]
	v_fma_f64 v[2:3], v[84:85], s[0:1], -v[0:1]
	v_add_f64 v[74:75], v[2:3], v[74:75]
	v_mul_f64 v[2:3], v[88:89], s[22:23]
	v_fmac_f64_e32 v[0:1], s[0:1], v[84:85]
	v_add_f64 v[72:73], v[72:73], v[126:127]
	v_add_f64 v[112:113], v[4:5], v[82:83]
	v_fma_f64 v[4:5], s[0:1], v[80:81], v[2:3]
	v_add_f64 v[70:71], v[0:1], v[70:71]
	v_fma_f64 v[0:1], v[80:81], s[0:1], -v[2:3]
	v_add_f64 v[76:77], v[4:5], v[72:73]
	v_add_f64 v[72:73], v[0:1], v[68:69]
	v_mul_lo_u16_e32 v0, 13, v232
	v_lshl_add_u32 v216, v0, 4, v239
	s_barrier
	ds_write_b128 v216, v[52:55]
	ds_write_b128 v216, v[56:59] offset:16
	ds_write_b128 v216, v[64:67] offset:32
	;; [unrolled: 1-line block ×12, first 2 shown]
	s_waitcnt lgkmcnt(0)
	s_barrier
	ds_read_b128 v[120:123], v233
	ds_read_b128 v[112:115], v233 offset:1248
	ds_read_b128 v[144:147], v233 offset:2704
	;; [unrolled: 1-line block ×11, first 2 shown]
	v_accvgpr_write_b32 a6, v12
	v_accvgpr_write_b32 a2, v8
	;; [unrolled: 1-line block ×24, first 2 shown]
	v_cmp_gt_u16_e32 vcc, 13, v232
                                        ; implicit-def: $vgpr164_vgpr165
                                        ; implicit-def: $vgpr168_vgpr169
                                        ; implicit-def: $vgpr172_vgpr173
                                        ; implicit-def: $vgpr176_vgpr177
                                        ; implicit-def: $vgpr180_vgpr181
	s_and_saveexec_b64 s[0:1], vcc
	s_cbranch_execz .LBB0_3
; %bb.2:
	ds_read_b128 v[116:119], v233 offset:2496
	ds_read_b128 v[164:167], v233 offset:5200
	;; [unrolled: 1-line block ×6, first 2 shown]
.LBB0_3:
	s_or_b64 exec, exec, s[0:1]
	s_movk_i32 s12, 0x4f
	v_mul_lo_u16_sdwa v0, v232, s12 dst_sel:DWORD dst_unused:UNUSED_PAD src0_sel:BYTE_0 src1_sel:DWORD
	v_add_u16_e32 v4, 0x4e, v232
	v_lshrrev_b16_e32 v185, 10, v0
	v_mul_lo_u16_sdwa v5, v4, s12 dst_sel:DWORD dst_unused:UNUSED_PAD src0_sel:BYTE_0 src1_sel:DWORD
	v_mul_lo_u16_e32 v0, 13, v185
	v_lshrrev_b16_e32 v8, 10, v5
	v_sub_u16_e32 v0, v232, v0
	v_mul_lo_u16_e32 v5, 13, v8
	v_and_b32_e32 v188, 0xff, v0
	s_movk_i32 s13, 0x50
	v_mov_b64_e32 v[0:1], s[10:11]
	v_sub_u16_e32 v4, v4, v5
	v_mad_u64_u32 v[2:3], s[0:1], v188, s13, v[0:1]
	v_and_b32_e32 v9, 0xff, v4
	global_load_dwordx4 v[72:75], v[2:3], off offset:48
	global_load_dwordx4 v[76:79], v[2:3], off offset:32
	;; [unrolled: 1-line block ×3, first 2 shown]
	global_load_dwordx4 v[84:87], v[2:3], off
	v_mad_u64_u32 v[4:5], s[0:1], v9, s13, v[0:1]
	global_load_dwordx4 v[88:91], v[2:3], off offset:64
	global_load_dwordx4 v[100:103], v[4:5], off
	global_load_dwordx4 v[96:99], v[4:5], off offset:16
	global_load_dwordx4 v[92:95], v[4:5], off offset:32
	v_add_u16_e32 v2, 0x9c, v232
	v_mul_lo_u16_sdwa v3, v2, s12 dst_sel:DWORD dst_unused:UNUSED_PAD src0_sel:BYTE_0 src1_sel:DWORD
	v_lshrrev_b16_e32 v3, 10, v3
	v_mul_lo_u16_e32 v3, 13, v3
	v_sub_u16_e32 v236, v2, v3
	global_load_dwordx4 v[108:111], v[4:5], off offset:48
	global_load_dwordx4 v[104:107], v[4:5], off offset:64
	v_and_b32_e32 v189, 0xff, v236
	v_mad_u64_u32 v[0:1], s[0:1], v189, s13, v[0:1]
	global_load_dwordx4 v[52:55], v[0:1], off
	global_load_dwordx4 v[64:67], v[0:1], off offset:16
	global_load_dwordx4 v[56:59], v[0:1], off offset:32
	;; [unrolled: 1-line block ×4, first 2 shown]
	s_mov_b32 s12, 0xe8584caa
	s_mov_b32 s13, 0x3febb67a
	;; [unrolled: 1-line block ×4, first 2 shown]
	s_waitcnt lgkmcnt(0)
	s_barrier
	s_waitcnt vmcnt(14)
	v_mul_f64 v[194:195], v[158:159], v[74:75]
	v_mul_f64 v[196:197], v[156:157], v[74:75]
	s_waitcnt vmcnt(12)
	v_mul_f64 v[4:5], v[150:151], v[82:83]
	s_waitcnt vmcnt(11)
	;; [unrolled: 2-line block ×4, first 2 shown]
	v_mul_f64 v[208:209], v[128:129], v[98:99]
	v_mul_f64 v[206:207], v[130:131], v[98:99]
	v_fmac_f64_e32 v[208:209], v[130:131], v[96:97]
	v_mul_f64 v[204:205], v[124:125], v[102:103]
	s_waitcnt vmcnt(7)
	v_mul_f64 v[210:211], v[134:135], v[94:95]
	v_fma_f64 v[4:5], v[148:149], v[80:81], -v[4:5]
	s_waitcnt vmcnt(6)
	v_mul_f64 v[214:215], v[138:139], v[110:111]
	v_mul_f64 v[218:219], v[136:137], v[110:111]
	s_waitcnt vmcnt(5)
	v_mul_f64 v[222:223], v[140:141], v[106:107]
	v_fma_f64 v[130:131], v[136:137], v[108:109], -v[214:215]
	s_waitcnt vmcnt(2)
	v_mul_f64 v[136:137], v[174:175], v[58:59]
	v_mul_f64 v[220:221], v[142:143], v[106:107]
	v_fmac_f64_e32 v[222:223], v[142:143], v[104:105]
	v_fma_f64 v[142:143], v[172:173], v[56:57], -v[136:137]
	s_waitcnt vmcnt(1)
	v_mul_f64 v[136:137], v[178:179], v[62:63]
	v_fma_f64 v[124:125], v[124:125], v[100:101], -v[202:203]
	v_fma_f64 v[202:203], v[176:177], v[60:61], -v[136:137]
	s_waitcnt vmcnt(0)
	v_mul_f64 v[136:137], v[182:183], v[70:71]
	v_mul_f64 v[0:1], v[146:147], v[86:87]
	;; [unrolled: 1-line block ×3, first 2 shown]
	v_fmac_f64_e32 v[2:3], v[146:147], v[84:85]
	v_fma_f64 v[146:147], v[156:157], v[72:73], -v[194:195]
	v_fmac_f64_e32 v[204:205], v[126:127], v[100:101]
	v_fma_f64 v[126:127], v[128:129], v[96:97], -v[206:207]
	v_fma_f64 v[128:129], v[132:133], v[92:93], -v[210:211]
	;; [unrolled: 1-line block ×3, first 2 shown]
	v_add_f64 v[136:137], v[120:121], v[4:5]
	v_fmac_f64_e32 v[6:7], v[150:151], v[80:81]
	v_fmac_f64_e32 v[196:197], v[158:159], v[72:73]
	v_add_f64 v[156:157], v[136:137], v[146:147]
	v_add_f64 v[136:137], v[4:5], v[146:147]
	v_mul_f64 v[190:191], v[154:155], v[78:79]
	v_mul_f64 v[198:199], v[162:163], v[90:91]
	v_fmac_f64_e32 v[120:121], -0.5, v[136:137]
	v_add_f64 v[136:137], v[6:7], -v[196:197]
	v_mul_f64 v[192:193], v[152:153], v[78:79]
	v_mul_f64 v[200:201], v[160:161], v[90:91]
	v_fma_f64 v[0:1], v[144:145], v[84:85], -v[0:1]
	v_fma_f64 v[144:145], v[152:153], v[76:77], -v[190:191]
	;; [unrolled: 1-line block ×3, first 2 shown]
	v_fma_f64 v[158:159], s[12:13], v[136:137], v[120:121]
	v_fmac_f64_e32 v[120:121], s[0:1], v[136:137]
	v_add_f64 v[136:137], v[122:123], v[6:7]
	v_add_f64 v[6:7], v[6:7], v[196:197]
	v_fmac_f64_e32 v[192:193], v[154:155], v[76:77]
	v_fmac_f64_e32 v[200:201], v[162:163], v[88:89]
	v_add_f64 v[162:163], v[136:137], v[196:197]
	v_fmac_f64_e32 v[122:123], -0.5, v[6:7]
	v_add_f64 v[4:5], v[4:5], -v[146:147]
	v_add_f64 v[136:137], v[144:145], v[148:149]
	v_fma_f64 v[6:7], s[0:1], v[4:5], v[122:123]
	v_fmac_f64_e32 v[122:123], s[12:13], v[4:5]
	v_add_f64 v[4:5], v[0:1], v[144:145]
	v_fmac_f64_e32 v[0:1], -0.5, v[136:137]
	v_add_f64 v[136:137], v[192:193], -v[200:201]
	v_mul_f64 v[186:187], v[164:165], v[54:55]
	v_fma_f64 v[146:147], s[12:13], v[136:137], v[0:1]
	v_fmac_f64_e32 v[0:1], s[0:1], v[136:137]
	v_add_f64 v[136:137], v[2:3], v[192:193]
	v_mul_f64 v[224:225], v[166:167], v[54:55]
	v_fmac_f64_e32 v[186:187], v[166:167], v[52:53]
	v_add_f64 v[166:167], v[136:137], v[200:201]
	v_add_f64 v[136:137], v[192:193], v[200:201]
	v_mul_f64 v[212:213], v[132:133], v[94:95]
	v_fmac_f64_e32 v[2:3], -0.5, v[136:137]
	v_add_f64 v[136:137], v[144:145], -v[148:149]
	v_fmac_f64_e32 v[212:213], v[134:135], v[92:93]
	v_fma_f64 v[134:135], v[164:165], v[52:53], -v[224:225]
	v_fma_f64 v[144:145], s[0:1], v[136:137], v[2:3]
	v_fmac_f64_e32 v[2:3], s[12:13], v[136:137]
	v_mul_f64 v[164:165], v[0:1], -0.5
	v_mul_f64 v[160:161], v[144:145], s[12:13]
	v_fmac_f64_e32 v[164:165], s[12:13], v[2:3]
	v_mul_f64 v[2:3], v[2:3], -0.5
	v_fmac_f64_e32 v[160:161], 0.5, v[146:147]
	v_mul_f64 v[146:147], v[146:147], s[0:1]
	v_fmac_f64_e32 v[2:3], s[0:1], v[0:1]
	v_fmac_f64_e32 v[218:219], v[138:139], v[108:109]
	v_add_f64 v[4:5], v[4:5], v[148:149]
	v_add_f64 v[148:149], v[158:159], v[160:161]
	;; [unrolled: 1-line block ×3, first 2 shown]
	v_fmac_f64_e32 v[146:147], 0.5, v[144:145]
	v_add_f64 v[154:155], v[122:123], v[2:3]
	v_add_f64 v[160:161], v[158:159], -v[160:161]
	v_add_f64 v[158:159], v[162:163], -v[166:167]
	;; [unrolled: 1-line block ×3, first 2 shown]
	v_add_f64 v[2:3], v[126:127], v[130:131]
	v_fma_f64 v[132:133], v[140:141], v[104:105], -v[220:221]
	v_add_f64 v[150:151], v[6:7], v[146:147]
	v_add_f64 v[162:163], v[6:7], -v[146:147]
	v_add_f64 v[0:1], v[112:113], v[126:127]
	v_fmac_f64_e32 v[112:113], -0.5, v[2:3]
	v_add_f64 v[2:3], v[208:209], -v[218:219]
	v_add_f64 v[6:7], v[208:209], v[218:219]
	v_add_f64 v[136:137], v[156:157], v[4:5]
	v_add_f64 v[156:157], v[156:157], -v[4:5]
	v_fma_f64 v[4:5], s[12:13], v[2:3], v[112:113]
	v_fmac_f64_e32 v[112:113], s[0:1], v[2:3]
	v_add_f64 v[2:3], v[114:115], v[208:209]
	v_fmac_f64_e32 v[114:115], -0.5, v[6:7]
	v_add_f64 v[6:7], v[126:127], -v[130:131]
	v_add_f64 v[122:123], v[128:129], v[132:133]
	v_add_f64 v[152:153], v[120:121], v[164:165]
	v_add_f64 v[164:165], v[120:121], -v[164:165]
	v_add_f64 v[0:1], v[0:1], v[130:131]
	v_fma_f64 v[120:121], s[0:1], v[6:7], v[114:115]
	v_fmac_f64_e32 v[114:115], s[12:13], v[6:7]
	v_add_f64 v[6:7], v[124:125], v[128:129]
	v_fmac_f64_e32 v[124:125], -0.5, v[122:123]
	v_add_f64 v[122:123], v[212:213], -v[222:223]
	v_add_f64 v[130:131], v[212:213], v[222:223]
	v_fma_f64 v[126:127], s[12:13], v[122:123], v[124:125]
	v_fmac_f64_e32 v[124:125], s[0:1], v[122:123]
	v_add_f64 v[122:123], v[204:205], v[212:213]
	v_fmac_f64_e32 v[204:205], -0.5, v[130:131]
	v_add_f64 v[128:129], v[128:129], -v[132:133]
	v_fma_f64 v[130:131], s[0:1], v[128:129], v[204:205]
	v_mul_f64 v[226:227], v[170:171], v[66:67]
	v_fmac_f64_e32 v[204:205], s[12:13], v[128:129]
	v_mul_f64 v[128:129], v[130:131], s[12:13]
	v_fma_f64 v[140:141], v[168:169], v[64:65], -v[226:227]
	v_add_f64 v[6:7], v[6:7], v[132:133]
	v_fmac_f64_e32 v[128:129], 0.5, v[126:127]
	v_mul_f64 v[126:127], v[126:127], s[0:1]
	v_mul_f64 v[228:229], v[168:169], v[66:67]
	;; [unrolled: 1-line block ×5, first 2 shown]
	v_add_f64 v[168:169], v[0:1], v[6:7]
	v_fmac_f64_e32 v[126:127], 0.5, v[130:131]
	v_add_f64 v[180:181], v[0:1], -v[6:7]
	v_add_f64 v[0:1], v[116:117], v[140:141]
	v_fmac_f64_e32 v[228:229], v[170:171], v[64:65]
	v_fmac_f64_e32 v[198:199], v[174:175], v[56:57]
	v_fmac_f64_e32 v[206:207], v[178:179], v[60:61]
	v_add_f64 v[174:175], v[120:121], v[126:127]
	v_add_f64 v[192:193], v[120:121], -v[126:127]
	v_add_f64 v[120:121], v[0:1], v[202:203]
	v_add_f64 v[0:1], v[140:141], v[202:203]
	v_add_f64 v[2:3], v[2:3], v[218:219]
	v_add_f64 v[122:123], v[122:123], v[222:223]
	v_fmac_f64_e32 v[116:117], -0.5, v[0:1]
	v_add_f64 v[0:1], v[228:229], -v[206:207]
	v_fmac_f64_e32 v[214:215], v[182:183], v[68:69]
	v_add_f64 v[170:171], v[2:3], v[122:123]
	v_add_f64 v[182:183], v[2:3], -v[122:123]
	v_fma_f64 v[2:3], s[12:13], v[0:1], v[116:117]
	v_fmac_f64_e32 v[116:117], s[0:1], v[0:1]
	v_add_f64 v[0:1], v[118:119], v[228:229]
	v_add_f64 v[122:123], v[0:1], v[206:207]
	;; [unrolled: 1-line block ×3, first 2 shown]
	v_fmac_f64_e32 v[118:119], -0.5, v[0:1]
	v_add_f64 v[0:1], v[140:141], -v[202:203]
	v_add_f64 v[172:173], v[4:5], v[128:129]
	v_mul_f64 v[130:131], v[204:205], -0.5
	v_add_f64 v[190:191], v[4:5], -v[128:129]
	v_fma_f64 v[4:5], s[0:1], v[0:1], v[118:119]
	v_fmac_f64_e32 v[118:119], s[12:13], v[0:1]
	v_add_f64 v[0:1], v[134:135], v[142:143]
	v_mul_f64 v[132:133], v[124:125], -0.5
	v_fmac_f64_e32 v[130:131], s[0:1], v[124:125]
	v_add_f64 v[124:125], v[0:1], v[210:211]
	v_add_f64 v[0:1], v[142:143], v[210:211]
	v_fmac_f64_e32 v[134:135], -0.5, v[0:1]
	v_add_f64 v[0:1], v[198:199], -v[214:215]
	v_fma_f64 v[6:7], s[12:13], v[0:1], v[134:135]
	v_fmac_f64_e32 v[134:135], s[0:1], v[0:1]
	v_add_f64 v[0:1], v[186:187], v[198:199]
	v_add_f64 v[126:127], v[0:1], v[214:215]
	;; [unrolled: 1-line block ×3, first 2 shown]
	v_fmac_f64_e32 v[186:187], -0.5, v[0:1]
	v_add_f64 v[0:1], v[142:143], -v[210:211]
	v_add_f64 v[178:179], v[114:115], v[130:131]
	v_add_f64 v[196:197], v[114:115], -v[130:131]
	v_fma_f64 v[114:115], s[0:1], v[0:1], v[186:187]
	v_fmac_f64_e32 v[186:187], s[12:13], v[0:1]
	v_mul_f64 v[0:1], v[114:115], s[12:13]
	v_fmac_f64_e32 v[132:133], s[12:13], v[204:205]
	v_fmac_f64_e32 v[0:1], 0.5, v[6:7]
	v_add_f64 v[176:177], v[112:113], v[132:133]
	v_add_f64 v[194:195], v[112:113], -v[132:133]
	v_add_f64 v[112:113], v[2:3], v[0:1]
	v_add_f64 v[144:145], v[2:3], -v[0:1]
	v_mul_u32_u24_e32 v0, 0x4e, v185
	v_add_u32_e32 v0, v0, v188
	v_mul_f64 v[140:141], v[134:135], -0.5
	v_mul_f64 v[6:7], v[6:7], s[0:1]
	v_mul_f64 v[142:143], v[186:187], -0.5
	v_lshl_add_u32 v237, v0, 4, v239
	v_mul_u32_u24_e32 v0, 0x4e, v8
	v_fmac_f64_e32 v[140:141], s[12:13], v[186:187]
	v_fmac_f64_e32 v[6:7], 0.5, v[114:115]
	v_fmac_f64_e32 v[142:143], s[0:1], v[134:135]
	v_add_u32_e32 v0, v0, v9
	v_add_f64 v[128:129], v[116:117], v[140:141]
	v_add_f64 v[114:115], v[4:5], v[6:7]
	;; [unrolled: 1-line block ×3, first 2 shown]
	v_add_f64 v[132:133], v[120:121], -v[124:125]
	v_add_f64 v[140:141], v[116:117], -v[140:141]
	;; [unrolled: 1-line block ×5, first 2 shown]
	v_lshl_add_u32 v238, v0, 4, v239
	ds_write_b128 v237, v[136:139]
	ds_write_b128 v237, v[148:151] offset:208
	ds_write_b128 v237, v[152:155] offset:416
	;; [unrolled: 1-line block ×5, first 2 shown]
	ds_write_b128 v238, v[168:171]
	ds_write_b128 v238, v[172:175] offset:208
	ds_write_b128 v238, v[176:179] offset:416
	ds_write_b128 v238, v[180:183] offset:624
	ds_write_b128 v238, v[190:193] offset:832
	ds_write_b128 v238, v[194:197] offset:1040
	s_and_saveexec_b64 s[0:1], vcc
	s_cbranch_execz .LBB0_5
; %bb.4:
	v_add_f64 v[118:119], v[122:123], v[126:127]
	v_add_f64 v[116:117], v[120:121], v[124:125]
	v_lshl_add_u32 v0, v189, 4, v239
	ds_write_b128 v0, v[116:119] offset:14976
	ds_write_b128 v0, v[112:115] offset:15184
	;; [unrolled: 1-line block ×6, first 2 shown]
.LBB0_5:
	s_or_b64 exec, exec, s[0:1]
	s_movk_i32 s0, 0xc0
	v_mov_b64_e32 v[0:1], s[10:11]
	v_mad_u64_u32 v[0:1], s[0:1], v232, s0, v[0:1]
	s_waitcnt lgkmcnt(0)
	s_barrier
	global_load_dwordx4 v[136:139], v[0:1], off offset:1040
	global_load_dwordx4 v[124:127], v[0:1], off offset:1056
	;; [unrolled: 1-line block ×12, first 2 shown]
	ds_read_b128 v[218:221], v233
	ds_read_b128 v[180:183], v233 offset:1248
	ds_read_b128 v[188:191], v233 offset:2496
	;; [unrolled: 1-line block ×12, first 2 shown]
	v_mov_b32_e32 v185, 0
	v_lshl_add_u64 v[204:205], s[8:9], 0, v[184:185]
	s_mov_b32 s18, 0x4267c47c
	s_mov_b32 s12, 0x42a4c3d2
	s_mov_b32 s8, 0x66966769
	s_mov_b32 s16, 0x2ef20147
	s_mov_b32 s19, 0xbfddbe06
	s_mov_b32 s13, 0xbfea55e2
	s_mov_b32 s9, 0xbfefc445
	s_mov_b32 s17, 0xbfedeba7
	s_mov_b32 s34, 0x93053d00
	s_mov_b32 s14, 0x1ea71119
	s_mov_b32 s10, 0xebaa3ed8
	s_mov_b32 s22, 0xb2365da1
	s_mov_b32 s26, 0xd0032e0c
	s_mov_b32 s35, 0xbfef11f4
	s_mov_b32 s15, 0x3fe22d96
	s_mov_b32 s11, 0x3fbedb7d
	s_mov_b32 s23, 0xbfd6b1d8
	s_mov_b32 s27, 0xbfe7f3cc
	s_mov_b32 s37, 0x3fe5384d
	s_mov_b32 s36, s24
	s_mov_b32 s29, 0x3fefc445
	s_mov_b32 s28, s8
	s_mov_b32 s41, 0x3fddbe06
	s_mov_b32 s40, s18
	s_mov_b32 s39, 0x3fedeba7
	s_mov_b32 s38, s16
	s_mov_b32 s45, 0x3fcea1e5
	s_mov_b32 s44, s30
	s_mov_b32 s43, 0x3fea55e2
	s_mov_b32 s42, s12
	s_movk_i32 s0, 0x3000
	s_waitcnt vmcnt(11) lgkmcnt(11)
	v_mul_f64 v[214:215], v[182:183], v[138:139]
	v_mul_f64 v[230:231], v[180:181], v[138:139]
	s_waitcnt vmcnt(10) lgkmcnt(10)
	v_mul_f64 v[234:235], v[190:191], v[126:127]
	v_mul_f64 v[8:9], v[188:189], v[126:127]
	v_fma_f64 v[34:35], v[180:181], v[136:137], -v[214:215]
	v_fmac_f64_e32 v[230:231], v[182:183], v[136:137]
	s_waitcnt vmcnt(9) lgkmcnt(9)
	v_mul_f64 v[10:11], v[198:199], v[122:123]
	v_mul_f64 v[210:211], v[196:197], v[122:123]
	v_fma_f64 v[234:235], v[188:189], v[124:125], -v[234:235]
	v_fmac_f64_e32 v[8:9], v[190:191], v[124:125]
	s_waitcnt vmcnt(1) lgkmcnt(1)
	v_mul_f64 v[28:29], v[0:1], v[170:171]
	s_waitcnt vmcnt(0) lgkmcnt(0)
	v_mul_f64 v[30:31], v[6:7], v[166:167]
	v_mul_f64 v[32:33], v[4:5], v[166:167]
	;; [unrolled: 1-line block ×3, first 2 shown]
	v_fmac_f64_e32 v[28:29], v[2:3], v[168:169]
	v_fma_f64 v[2:3], v[4:5], v[164:165], -v[30:31]
	v_fmac_f64_e32 v[32:33], v[6:7], v[164:165]
	v_add_f64 v[4:5], v[218:219], v[34:35]
	v_add_f64 v[6:7], v[220:221], v[230:231]
	v_mul_f64 v[12:13], v[208:209], v[118:119]
	v_mul_f64 v[200:201], v[206:207], v[118:119]
	v_fma_f64 v[214:215], v[196:197], v[120:121], -v[10:11]
	v_fmac_f64_e32 v[210:211], v[198:199], v[120:121]
	v_add_f64 v[4:5], v[4:5], v[234:235]
	v_add_f64 v[6:7], v[6:7], v[8:9]
	v_mul_f64 v[14:15], v[224:225], v[162:163]
	v_mul_f64 v[192:193], v[222:223], v[162:163]
	v_fma_f64 v[206:207], v[206:207], v[116:117], -v[12:13]
	v_fmac_f64_e32 v[200:201], v[208:209], v[116:117]
	v_add_f64 v[4:5], v[4:5], v[214:215]
	v_add_f64 v[6:7], v[6:7], v[210:211]
	v_mul_f64 v[16:17], v[228:229], v[158:159]
	v_mul_f64 v[184:185], v[226:227], v[158:159]
	v_fma_f64 v[196:197], v[222:223], v[160:161], -v[14:15]
	v_fmac_f64_e32 v[192:193], v[224:225], v[160:161]
	v_add_f64 v[4:5], v[4:5], v[206:207]
	v_add_f64 v[6:7], v[6:7], v[200:201]
	v_mul_f64 v[18:19], v[242:243], v[154:155]
	v_mul_f64 v[186:187], v[240:241], v[154:155]
	v_fma_f64 v[188:189], v[226:227], v[156:157], -v[16:17]
	v_fmac_f64_e32 v[184:185], v[228:229], v[156:157]
	v_add_f64 v[4:5], v[4:5], v[196:197]
	v_add_f64 v[6:7], v[6:7], v[192:193]
	v_mul_f64 v[20:21], v[246:247], v[150:151]
	v_mul_f64 v[194:195], v[244:245], v[150:151]
	v_fma_f64 v[190:191], v[240:241], v[152:153], -v[18:19]
	v_fmac_f64_e32 v[186:187], v[242:243], v[152:153]
	v_add_f64 v[4:5], v[4:5], v[188:189]
	v_add_f64 v[6:7], v[6:7], v[184:185]
	v_mul_f64 v[22:23], v[250:251], v[178:179]
	v_mul_f64 v[202:203], v[248:249], v[178:179]
	v_fma_f64 v[198:199], v[244:245], v[148:149], -v[20:21]
	v_fmac_f64_e32 v[194:195], v[246:247], v[148:149]
	v_add_f64 v[4:5], v[4:5], v[190:191]
	v_add_f64 v[6:7], v[6:7], v[186:187]
	v_mul_f64 v[24:25], v[254:255], v[174:175]
	v_mul_f64 v[212:213], v[252:253], v[174:175]
	v_fma_f64 v[208:209], v[248:249], v[176:177], -v[22:23]
	v_fmac_f64_e32 v[202:203], v[250:251], v[176:177]
	v_add_f64 v[4:5], v[4:5], v[198:199]
	v_add_f64 v[6:7], v[6:7], v[194:195]
	v_fma_f64 v[10:11], v[252:253], v[172:173], -v[24:25]
	v_fmac_f64_e32 v[212:213], v[254:255], v[172:173]
	v_add_f64 v[4:5], v[4:5], v[208:209]
	v_add_f64 v[6:7], v[6:7], v[202:203]
	v_fma_f64 v[0:1], v[0:1], v[168:169], -v[26:27]
	v_add_f64 v[4:5], v[4:5], v[10:11]
	v_add_f64 v[6:7], v[6:7], v[212:213]
	v_add_f64 v[4:5], v[4:5], v[0:1]
	v_add_f64 v[6:7], v[6:7], v[28:29]
	v_add_f64 v[12:13], v[230:231], -v[32:33]
	v_add_f64 v[180:181], v[4:5], v[2:3]
	v_add_f64 v[182:183], v[6:7], v[32:33]
	;; [unrolled: 1-line block ×4, first 2 shown]
	v_mul_f64 v[14:15], v[12:13], s[18:19]
	v_mul_f64 v[22:23], v[12:13], s[12:13]
	v_mul_f64 v[32:33], v[12:13], s[8:9]
	v_mul_f64 v[226:227], v[12:13], s[16:17]
	v_mul_f64 v[242:243], v[12:13], s[24:25]
	v_mul_f64 v[12:13], v[12:13], s[30:31]
	v_add_f64 v[2:3], v[34:35], -v[2:3]
	v_fma_f64 v[250:251], v[4:5], s[34:35], -v[12:13]
	v_fmac_f64_e32 v[12:13], s[34:35], v[4:5]
	v_fma_f64 v[16:17], v[4:5], s[20:21], -v[14:15]
	v_mul_f64 v[18:19], v[2:3], s[18:19]
	v_fmac_f64_e32 v[14:15], s[20:21], v[4:5]
	v_fma_f64 v[24:25], v[4:5], s[14:15], -v[22:23]
	v_mul_f64 v[26:27], v[2:3], s[12:13]
	;; [unrolled: 3-line block ×5, first 2 shown]
	v_fmac_f64_e32 v[242:243], s[26:27], v[4:5]
	v_mul_f64 v[2:3], v[2:3], s[30:31]
	v_add_f64 v[4:5], v[218:219], v[12:13]
	v_add_f64 v[12:13], v[8:9], v[28:29]
	v_add_f64 v[8:9], v[8:9], -v[28:29]
	v_fma_f64 v[20:21], s[20:21], v[6:7], v[18:19]
	v_fma_f64 v[18:19], v[6:7], s[20:21], -v[18:19]
	v_fma_f64 v[30:31], s[14:15], v[6:7], v[26:27]
	v_fma_f64 v[26:27], v[6:7], s[14:15], -v[26:27]
	;; [unrolled: 2-line block ×6, first 2 shown]
	v_add_f64 v[6:7], v[234:235], v[0:1]
	v_mul_f64 v[28:29], v[8:9], s[12:13]
	v_add_f64 v[16:17], v[218:219], v[16:17]
	v_add_f64 v[14:15], v[218:219], v[14:15]
	;; [unrolled: 1-line block ×11, first 2 shown]
	v_add_f64 v[0:1], v[234:235], -v[0:1]
	v_fma_f64 v[218:219], v[6:7], s[14:15], -v[28:29]
	v_add_f64 v[16:17], v[218:219], v[16:17]
	v_mul_f64 v[218:219], v[0:1], s[12:13]
	v_fmac_f64_e32 v[28:29], s[14:15], v[6:7]
	v_add_f64 v[18:19], v[220:221], v[18:19]
	v_add_f64 v[14:15], v[28:29], v[14:15]
	v_fma_f64 v[28:29], v[12:13], s[14:15], -v[218:219]
	v_add_f64 v[18:19], v[28:29], v[18:19]
	v_mul_f64 v[28:29], v[8:9], s[16:17]
	v_add_f64 v[20:21], v[220:221], v[20:21]
	v_add_f64 v[30:31], v[220:221], v[30:31]
	v_add_f64 v[26:27], v[220:221], v[26:27]
	v_add_f64 v[224:225], v[220:221], v[224:225]
	v_add_f64 v[222:223], v[220:221], v[222:223]
	v_add_f64 v[240:241], v[220:221], v[240:241]
	v_add_f64 v[230:231], v[220:221], v[230:231]
	v_add_f64 v[248:249], v[220:221], v[248:249]
	v_add_f64 v[246:247], v[220:221], v[246:247]
	v_add_f64 v[252:253], v[220:221], v[252:253]
	v_add_f64 v[2:3], v[220:221], v[2:3]
	v_fma_f64 v[220:221], s[14:15], v[12:13], v[218:219]
	v_fma_f64 v[218:219], v[6:7], s[22:23], -v[28:29]
	v_add_f64 v[24:25], v[218:219], v[24:25]
	v_mul_f64 v[218:219], v[0:1], s[16:17]
	v_fmac_f64_e32 v[28:29], s[22:23], v[6:7]
	v_add_f64 v[22:23], v[28:29], v[22:23]
	v_fma_f64 v[28:29], v[12:13], s[22:23], -v[218:219]
	v_add_f64 v[26:27], v[28:29], v[26:27]
	v_mul_f64 v[28:29], v[8:9], s[30:31]
	v_add_f64 v[20:21], v[220:221], v[20:21]
	v_fma_f64 v[220:221], s[22:23], v[12:13], v[218:219]
	v_fma_f64 v[218:219], v[6:7], s[34:35], -v[28:29]
	v_add_f64 v[34:35], v[218:219], v[34:35]
	v_mul_f64 v[218:219], v[0:1], s[30:31]
	v_fmac_f64_e32 v[28:29], s[34:35], v[6:7]
	v_add_f64 v[30:31], v[220:221], v[30:31]
	v_fma_f64 v[220:221], s[34:35], v[12:13], v[218:219]
	v_add_f64 v[28:29], v[28:29], v[32:33]
	v_fma_f64 v[32:33], v[12:13], s[34:35], -v[218:219]
	v_mul_f64 v[218:219], v[8:9], s[36:37]
	v_add_f64 v[220:221], v[220:221], v[224:225]
	v_add_f64 v[32:33], v[32:33], v[222:223]
	v_fma_f64 v[222:223], v[6:7], s[26:27], -v[218:219]
	v_mul_f64 v[224:225], v[0:1], s[36:37]
	v_fmac_f64_e32 v[218:219], s[26:27], v[6:7]
	v_add_f64 v[222:223], v[222:223], v[228:229]
	v_fma_f64 v[228:229], s[26:27], v[12:13], v[224:225]
	v_add_f64 v[218:219], v[218:219], v[226:227]
	v_fma_f64 v[224:225], v[12:13], s[26:27], -v[224:225]
	v_mul_f64 v[226:227], v[8:9], s[28:29]
	v_add_f64 v[224:225], v[224:225], v[230:231]
	v_fma_f64 v[230:231], v[6:7], s[10:11], -v[226:227]
	v_mul_f64 v[234:235], v[0:1], s[28:29]
	v_fmac_f64_e32 v[226:227], s[10:11], v[6:7]
	v_mul_f64 v[8:9], v[8:9], s[40:41]
	v_mul_f64 v[0:1], v[0:1], s[40:41]
	v_add_f64 v[230:231], v[230:231], v[244:245]
	v_add_f64 v[226:227], v[226:227], v[242:243]
	v_fma_f64 v[242:243], v[6:7], s[20:21], -v[8:9]
	v_fma_f64 v[244:245], s[20:21], v[12:13], v[0:1]
	v_fmac_f64_e32 v[8:9], s[20:21], v[6:7]
	v_fma_f64 v[0:1], v[12:13], s[20:21], -v[0:1]
	v_add_f64 v[4:5], v[8:9], v[4:5]
	v_add_f64 v[0:1], v[0:1], v[2:3]
	;; [unrolled: 1-line block ×3, first 2 shown]
	v_add_f64 v[8:9], v[214:215], -v[10:11]
	v_add_f64 v[10:11], v[210:211], -v[212:213]
	v_add_f64 v[228:229], v[228:229], v[240:241]
	v_fma_f64 v[240:241], s[10:11], v[12:13], v[234:235]
	v_fma_f64 v[234:235], v[12:13], s[10:11], -v[234:235]
	v_mul_f64 v[12:13], v[10:11], s[8:9]
	v_add_f64 v[6:7], v[210:211], v[212:213]
	v_fma_f64 v[210:211], v[2:3], s[10:11], -v[12:13]
	v_add_f64 v[16:17], v[210:211], v[16:17]
	v_mul_f64 v[210:211], v[8:9], s[8:9]
	v_fmac_f64_e32 v[12:13], s[10:11], v[2:3]
	v_add_f64 v[12:13], v[12:13], v[14:15]
	v_fma_f64 v[14:15], v[6:7], s[10:11], -v[210:211]
	v_add_f64 v[14:15], v[14:15], v[18:19]
	v_mul_f64 v[18:19], v[10:11], s[30:31]
	v_fma_f64 v[212:213], s[10:11], v[6:7], v[210:211]
	v_fma_f64 v[210:211], v[2:3], s[34:35], -v[18:19]
	v_add_f64 v[24:25], v[210:211], v[24:25]
	v_mul_f64 v[210:211], v[8:9], s[30:31]
	v_fmac_f64_e32 v[18:19], s[34:35], v[2:3]
	v_add_f64 v[18:19], v[18:19], v[22:23]
	v_fma_f64 v[22:23], v[6:7], s[34:35], -v[210:211]
	v_add_f64 v[22:23], v[22:23], v[26:27]
	v_mul_f64 v[26:27], v[10:11], s[38:39]
	v_add_f64 v[20:21], v[212:213], v[20:21]
	v_fma_f64 v[212:213], s[34:35], v[6:7], v[210:211]
	v_fma_f64 v[210:211], v[2:3], s[22:23], -v[26:27]
	v_add_f64 v[34:35], v[210:211], v[34:35]
	v_mul_f64 v[210:211], v[8:9], s[38:39]
	v_fmac_f64_e32 v[26:27], s[22:23], v[2:3]
	v_add_f64 v[26:27], v[26:27], v[28:29]
	v_fma_f64 v[28:29], v[6:7], s[22:23], -v[210:211]
	v_add_f64 v[28:29], v[28:29], v[32:33]
	v_mul_f64 v[32:33], v[10:11], s[40:41]
	v_add_f64 v[30:31], v[212:213], v[30:31]
	v_fma_f64 v[212:213], s[22:23], v[6:7], v[210:211]
	v_fma_f64 v[210:211], v[2:3], s[20:21], -v[32:33]
	v_fmac_f64_e32 v[32:33], s[20:21], v[2:3]
	v_mul_f64 v[214:215], v[8:9], s[40:41]
	v_add_f64 v[32:33], v[32:33], v[218:219]
	v_mul_f64 v[218:219], v[10:11], s[12:13]
	v_add_f64 v[212:213], v[212:213], v[220:221]
	v_add_f64 v[210:211], v[210:211], v[222:223]
	v_fma_f64 v[220:221], s[20:21], v[6:7], v[214:215]
	v_fma_f64 v[214:215], v[6:7], s[20:21], -v[214:215]
	v_fma_f64 v[222:223], v[2:3], s[14:15], -v[218:219]
	v_fmac_f64_e32 v[218:219], s[14:15], v[2:3]
	v_mul_f64 v[10:11], v[10:11], s[24:25]
	v_add_f64 v[214:215], v[214:215], v[224:225]
	v_mul_f64 v[224:225], v[8:9], s[12:13]
	v_add_f64 v[218:219], v[218:219], v[226:227]
	v_fma_f64 v[226:227], v[2:3], s[26:27], -v[10:11]
	v_mul_f64 v[8:9], v[8:9], s[24:25]
	v_fmac_f64_e32 v[10:11], s[26:27], v[2:3]
	v_add_f64 v[2:3], v[10:11], v[4:5]
	v_fma_f64 v[4:5], v[6:7], s[26:27], -v[8:9]
	v_add_f64 v[10:11], v[200:201], -v[202:203]
	v_add_f64 v[220:221], v[220:221], v[228:229]
	v_add_f64 v[222:223], v[222:223], v[230:231]
	v_fma_f64 v[228:229], s[14:15], v[6:7], v[224:225]
	v_fma_f64 v[224:225], v[6:7], s[14:15], -v[224:225]
	v_fma_f64 v[230:231], s[26:27], v[6:7], v[8:9]
	v_add_f64 v[0:1], v[4:5], v[0:1]
	v_add_f64 v[4:5], v[206:207], v[208:209]
	;; [unrolled: 1-line block ×3, first 2 shown]
	v_mul_f64 v[200:201], v[10:11], s[16:17]
	v_add_f64 v[8:9], v[206:207], -v[208:209]
	v_fma_f64 v[202:203], v[4:5], s[22:23], -v[200:201]
	v_add_f64 v[16:17], v[202:203], v[16:17]
	v_mul_f64 v[202:203], v[8:9], s[16:17]
	v_fmac_f64_e32 v[200:201], s[22:23], v[4:5]
	v_add_f64 v[12:13], v[200:201], v[12:13]
	v_fma_f64 v[200:201], v[6:7], s[22:23], -v[202:203]
	v_add_f64 v[14:15], v[200:201], v[14:15]
	v_mul_f64 v[200:201], v[10:11], s[36:37]
	v_fma_f64 v[206:207], s[22:23], v[6:7], v[202:203]
	v_fma_f64 v[202:203], v[4:5], s[26:27], -v[200:201]
	v_add_f64 v[24:25], v[202:203], v[24:25]
	v_mul_f64 v[202:203], v[8:9], s[36:37]
	v_fmac_f64_e32 v[200:201], s[26:27], v[4:5]
	v_add_f64 v[18:19], v[200:201], v[18:19]
	v_fma_f64 v[200:201], v[6:7], s[26:27], -v[202:203]
	v_add_f64 v[22:23], v[200:201], v[22:23]
	v_mul_f64 v[200:201], v[10:11], s[40:41]
	v_add_f64 v[20:21], v[206:207], v[20:21]
	v_fma_f64 v[206:207], s[26:27], v[6:7], v[202:203]
	v_fma_f64 v[202:203], v[4:5], s[20:21], -v[200:201]
	v_add_f64 v[34:35], v[202:203], v[34:35]
	v_mul_f64 v[202:203], v[8:9], s[40:41]
	v_fmac_f64_e32 v[200:201], s[20:21], v[4:5]
	v_add_f64 v[26:27], v[200:201], v[26:27]
	v_fma_f64 v[200:201], v[6:7], s[20:21], -v[202:203]
	v_add_f64 v[28:29], v[200:201], v[28:29]
	v_mul_f64 v[200:201], v[10:11], s[8:9]
	v_add_f64 v[30:31], v[206:207], v[30:31]
	v_fma_f64 v[206:207], s[20:21], v[6:7], v[202:203]
	v_fma_f64 v[202:203], v[4:5], s[10:11], -v[200:201]
	v_mul_f64 v[208:209], v[8:9], s[8:9]
	v_fmac_f64_e32 v[200:201], s[10:11], v[4:5]
	v_add_f64 v[202:203], v[202:203], v[210:211]
	v_fma_f64 v[210:211], s[10:11], v[6:7], v[208:209]
	v_add_f64 v[32:33], v[200:201], v[32:33]
	v_fma_f64 v[200:201], v[6:7], s[10:11], -v[208:209]
	v_mul_f64 v[208:209], v[10:11], s[44:45]
	v_add_f64 v[206:207], v[206:207], v[212:213]
	v_fma_f64 v[212:213], v[4:5], s[34:35], -v[208:209]
	v_fmac_f64_e32 v[208:209], s[34:35], v[4:5]
	v_mul_f64 v[10:11], v[10:11], s[42:43]
	v_add_f64 v[200:201], v[200:201], v[214:215]
	v_mul_f64 v[214:215], v[8:9], s[44:45]
	v_add_f64 v[208:209], v[208:209], v[218:219]
	v_fma_f64 v[218:219], v[4:5], s[14:15], -v[10:11]
	v_mul_f64 v[8:9], v[8:9], s[42:43]
	v_fmac_f64_e32 v[10:11], s[14:15], v[4:5]
	v_add_f64 v[2:3], v[10:11], v[2:3]
	v_fma_f64 v[4:5], v[6:7], s[14:15], -v[8:9]
	v_add_f64 v[10:11], v[192:193], -v[194:195]
	v_add_f64 v[210:211], v[210:211], v[220:221]
	v_add_f64 v[212:213], v[212:213], v[222:223]
	v_fma_f64 v[220:221], s[34:35], v[6:7], v[214:215]
	v_fma_f64 v[214:215], v[6:7], s[34:35], -v[214:215]
	v_fma_f64 v[222:223], s[14:15], v[6:7], v[8:9]
	v_add_f64 v[0:1], v[4:5], v[0:1]
	v_add_f64 v[4:5], v[196:197], v[198:199]
	;; [unrolled: 1-line block ×3, first 2 shown]
	v_mul_f64 v[192:193], v[10:11], s[24:25]
	v_add_f64 v[8:9], v[196:197], -v[198:199]
	v_fma_f64 v[194:195], v[4:5], s[26:27], -v[192:193]
	v_add_f64 v[16:17], v[194:195], v[16:17]
	v_mul_f64 v[194:195], v[8:9], s[24:25]
	v_fmac_f64_e32 v[192:193], s[26:27], v[4:5]
	v_add_f64 v[12:13], v[192:193], v[12:13]
	v_fma_f64 v[192:193], v[6:7], s[26:27], -v[194:195]
	v_add_f64 v[14:15], v[192:193], v[14:15]
	v_mul_f64 v[192:193], v[10:11], s[28:29]
	v_fma_f64 v[196:197], s[26:27], v[6:7], v[194:195]
	v_fma_f64 v[194:195], v[4:5], s[10:11], -v[192:193]
	v_add_f64 v[24:25], v[194:195], v[24:25]
	v_mul_f64 v[194:195], v[8:9], s[28:29]
	v_fmac_f64_e32 v[192:193], s[10:11], v[4:5]
	v_add_f64 v[18:19], v[192:193], v[18:19]
	v_fma_f64 v[192:193], v[6:7], s[10:11], -v[194:195]
	v_add_f64 v[22:23], v[192:193], v[22:23]
	v_mul_f64 v[192:193], v[10:11], s[12:13]
	v_add_f64 v[20:21], v[196:197], v[20:21]
	v_fma_f64 v[196:197], s[10:11], v[6:7], v[194:195]
	v_fma_f64 v[194:195], v[4:5], s[14:15], -v[192:193]
	v_add_f64 v[34:35], v[194:195], v[34:35]
	v_mul_f64 v[194:195], v[8:9], s[12:13]
	v_fmac_f64_e32 v[192:193], s[14:15], v[4:5]
	v_add_f64 v[26:27], v[192:193], v[26:27]
	v_fma_f64 v[192:193], v[6:7], s[14:15], -v[194:195]
	v_add_f64 v[28:29], v[192:193], v[28:29]
	v_mul_f64 v[192:193], v[10:11], s[44:45]
	v_add_f64 v[30:31], v[196:197], v[30:31]
	v_fma_f64 v[196:197], s[14:15], v[6:7], v[194:195]
	v_fma_f64 v[194:195], v[4:5], s[34:35], -v[192:193]
	v_add_f64 v[202:203], v[194:195], v[202:203]
	v_mul_f64 v[194:195], v[8:9], s[44:45]
	v_fmac_f64_e32 v[192:193], s[34:35], v[4:5]
	v_fma_f64 v[198:199], s[34:35], v[6:7], v[194:195]
	v_add_f64 v[32:33], v[192:193], v[32:33]
	v_fma_f64 v[192:193], v[6:7], s[34:35], -v[194:195]
	v_add_f64 v[196:197], v[196:197], v[206:207]
	v_add_f64 v[206:207], v[198:199], v[210:211]
	;; [unrolled: 1-line block ×3, first 2 shown]
	v_mul_f64 v[192:193], v[10:11], s[40:41]
	v_add_f64 v[234:235], v[234:235], v[246:247]
	v_fma_f64 v[194:195], v[4:5], s[20:21], -v[192:193]
	v_add_f64 v[242:243], v[242:243], v[250:251]
	v_add_f64 v[224:225], v[224:225], v[234:235]
	;; [unrolled: 1-line block ×3, first 2 shown]
	v_mul_f64 v[194:195], v[8:9], s[40:41]
	v_fmac_f64_e32 v[192:193], s[20:21], v[4:5]
	v_add_f64 v[244:245], v[244:245], v[252:253]
	v_add_f64 v[226:227], v[226:227], v[242:243]
	;; [unrolled: 1-line block ×4, first 2 shown]
	v_fma_f64 v[192:193], v[6:7], s[20:21], -v[194:195]
	v_mul_f64 v[10:11], v[10:11], s[16:17]
	v_add_f64 v[240:241], v[240:241], v[248:249]
	v_add_f64 v[230:231], v[230:231], v[244:245]
	;; [unrolled: 1-line block ×4, first 2 shown]
	v_fma_f64 v[192:193], v[4:5], s[22:23], -v[10:11]
	v_mul_f64 v[8:9], v[8:9], s[16:17]
	v_add_f64 v[228:229], v[228:229], v[240:241]
	v_add_f64 v[222:223], v[222:223], v[230:231]
	;; [unrolled: 1-line block ×3, first 2 shown]
	v_fma_f64 v[192:193], s[22:23], v[6:7], v[8:9]
	v_add_f64 v[220:221], v[220:221], v[228:229]
	v_add_f64 v[228:229], v[192:193], v[222:223]
	v_fmac_f64_e32 v[10:11], s[22:23], v[4:5]
	v_add_f64 v[222:223], v[184:185], -v[186:187]
	v_add_f64 v[10:11], v[10:11], v[2:3]
	v_fma_f64 v[2:3], v[6:7], s[22:23], -v[8:9]
	v_add_f64 v[230:231], v[188:189], v[190:191]
	v_add_f64 v[240:241], v[188:189], -v[190:191]
	v_mul_f64 v[4:5], v[222:223], s[30:31]
	v_fma_f64 v[198:199], s[20:21], v[6:7], v[194:195]
	v_add_f64 v[8:9], v[2:3], v[0:1]
	v_add_f64 v[234:235], v[184:185], v[186:187]
	v_fma_f64 v[0:1], v[230:231], s[34:35], -v[4:5]
	v_mul_f64 v[6:7], v[240:241], s[30:31]
	v_fmac_f64_e32 v[4:5], s[34:35], v[230:231]
	v_fma_f64 v[2:3], s[34:35], v[234:235], v[6:7]
	v_add_f64 v[4:5], v[4:5], v[12:13]
	v_fma_f64 v[6:7], v[234:235], s[34:35], -v[6:7]
	v_mul_f64 v[12:13], v[222:223], s[40:41]
	v_add_f64 v[6:7], v[6:7], v[14:15]
	v_fma_f64 v[14:15], v[230:231], s[20:21], -v[12:13]
	v_add_f64 v[184:185], v[14:15], v[24:25]
	v_mul_f64 v[14:15], v[240:241], s[40:41]
	v_fmac_f64_e32 v[12:13], s[20:21], v[230:231]
	v_add_f64 v[188:189], v[12:13], v[18:19]
	v_fma_f64 v[12:13], v[234:235], s[20:21], -v[14:15]
	v_add_f64 v[190:191], v[12:13], v[22:23]
	v_mul_f64 v[12:13], v[222:223], s[24:25]
	v_add_f64 v[0:1], v[0:1], v[16:17]
	v_fma_f64 v[16:17], s[20:21], v[234:235], v[14:15]
	v_fma_f64 v[14:15], v[230:231], s[26:27], -v[12:13]
	v_add_f64 v[192:193], v[14:15], v[34:35]
	v_mul_f64 v[14:15], v[240:241], s[24:25]
	v_add_f64 v[186:187], v[16:17], v[30:31]
	v_fma_f64 v[16:17], s[26:27], v[234:235], v[14:15]
	v_fmac_f64_e32 v[12:13], s[26:27], v[230:231]
	v_add_f64 v[194:195], v[16:17], v[196:197]
	v_add_f64 v[196:197], v[12:13], v[26:27]
	v_fma_f64 v[12:13], v[234:235], s[26:27], -v[14:15]
	v_add_f64 v[220:221], v[198:199], v[220:221]
	v_add_f64 v[198:199], v[12:13], v[28:29]
	v_mul_f64 v[12:13], v[222:223], s[42:43]
	v_fma_f64 v[14:15], v[230:231], s[14:15], -v[12:13]
	v_add_f64 v[200:201], v[14:15], v[202:203]
	v_mul_f64 v[14:15], v[240:241], s[42:43]
	v_fma_f64 v[16:17], s[14:15], v[234:235], v[14:15]
	v_fmac_f64_e32 v[12:13], s[14:15], v[230:231]
	v_add_f64 v[202:203], v[16:17], v[206:207]
	v_add_f64 v[206:207], v[12:13], v[32:33]
	v_fma_f64 v[12:13], v[234:235], s[14:15], -v[14:15]
	v_add_f64 v[208:209], v[12:13], v[210:211]
	v_mul_f64 v[12:13], v[222:223], s[16:17]
	v_fma_f64 v[14:15], v[230:231], s[22:23], -v[12:13]
	v_add_f64 v[210:211], v[14:15], v[212:213]
	v_mul_f64 v[14:15], v[240:241], s[16:17]
	v_fmac_f64_e32 v[12:13], s[22:23], v[230:231]
	v_fma_f64 v[16:17], s[22:23], v[234:235], v[14:15]
	v_add_f64 v[218:219], v[12:13], v[224:225]
	v_fma_f64 v[12:13], v[234:235], s[22:23], -v[14:15]
	v_add_f64 v[212:213], v[16:17], v[220:221]
	v_add_f64 v[220:221], v[12:13], v[214:215]
	v_mul_f64 v[12:13], v[222:223], s[28:29]
	v_fma_f64 v[14:15], v[230:231], s[10:11], -v[12:13]
	v_add_f64 v[222:223], v[14:15], v[226:227]
	v_mul_f64 v[14:15], v[240:241], s[28:29]
	v_fmac_f64_e32 v[12:13], s[10:11], v[230:231]
	v_fma_f64 v[16:17], s[10:11], v[234:235], v[14:15]
	v_add_f64 v[226:227], v[12:13], v[10:11]
	v_fma_f64 v[10:11], v[234:235], s[10:11], -v[14:15]
	v_add_f64 v[2:3], v[2:3], v[20:21]
	v_add_f64 v[224:225], v[16:17], v[228:229]
	;; [unrolled: 1-line block ×3, first 2 shown]
	ds_write_b128 v233, v[180:183]
	ds_write_b128 v233, v[0:3] offset:1248
	ds_write_b128 v233, v[184:187] offset:2496
	ds_write_b128 v233, v[192:195] offset:3744
	ds_write_b128 v233, v[200:203] offset:4992
	ds_write_b128 v233, v[210:213] offset:6240
	ds_write_b128 v233, v[222:225] offset:7488
	ds_write_b128 v233, v[226:229] offset:8736
	ds_write_b128 v233, v[218:221] offset:9984
	ds_write_b128 v233, v[206:209] offset:11232
	ds_write_b128 v233, v[196:199] offset:12480
	ds_write_b128 v233, v[188:191] offset:13728
	ds_write_b128 v233, v[4:7] offset:14976
	v_add_co_u32_e64 v0, s[0:1], s0, v204
	s_waitcnt lgkmcnt(0)
	s_nop 0
	v_addc_co_u32_e64 v1, s[0:1], 0, v205, s[0:1]
	s_barrier
	global_load_dwordx4 v[180:183], v[0:1], off offset:3936
	s_mov_b64 s[0:1], 0x3f60
	v_lshl_add_u64 v[0:1], v[204:205], 0, s[0:1]
	global_load_dwordx4 v[184:187], v[0:1], off offset:1248
	global_load_dwordx4 v[188:191], v[0:1], off offset:2496
	;; [unrolled: 1-line block ×3, first 2 shown]
	s_movk_i32 s0, 0x5000
	v_add_co_u32_e64 v0, s[0:1], s0, v204
	s_nop 1
	v_addc_co_u32_e64 v1, s[0:1], 0, v205, s[0:1]
	global_load_dwordx4 v[196:199], v[0:1], off offset:736
	global_load_dwordx4 v[200:203], v[0:1], off offset:1984
	s_nop 0
	global_load_dwordx4 v[0:3], v[0:1], off offset:3232
	s_movk_i32 s0, 0x6000
	v_add_co_u32_e64 v8, s[0:1], s0, v204
	s_nop 1
	v_addc_co_u32_e64 v9, s[0:1], 0, v205, s[0:1]
	global_load_dwordx4 v[4:7], v[8:9], off offset:384
	global_load_dwordx4 v[206:209], v[8:9], off offset:1632
	;; [unrolled: 1-line block ×3, first 2 shown]
	s_movk_i32 s0, 0x7000
	v_add_co_u32_e64 v8, s[0:1], s0, v204
	s_nop 1
	v_addc_co_u32_e64 v9, s[0:1], 0, v205, s[0:1]
	global_load_dwordx4 v[218:221], v[8:9], off offset:32
	global_load_dwordx4 v[222:225], v[8:9], off offset:1280
	;; [unrolled: 1-line block ×3, first 2 shown]
	ds_read_b128 v[240:243], v233
	ds_read_b128 v[244:247], v233 offset:1248
	s_waitcnt vmcnt(12) lgkmcnt(1)
	v_mul_f64 v[8:9], v[242:243], v[182:183]
	v_mul_f64 v[250:251], v[240:241], v[182:183]
	v_fma_f64 v[248:249], v[240:241], v[180:181], -v[8:9]
	v_fmac_f64_e32 v[250:251], v[242:243], v[180:181]
	s_waitcnt vmcnt(11) lgkmcnt(0)
	v_mul_f64 v[8:9], v[246:247], v[186:187]
	ds_read_b128 v[240:243], v233 offset:2496
	v_mul_f64 v[182:183], v[244:245], v[186:187]
	v_fma_f64 v[180:181], v[244:245], v[184:185], -v[8:9]
	v_fmac_f64_e32 v[182:183], v[246:247], v[184:185]
	ds_write_b128 v233, v[180:183] offset:1248
	ds_read_b128 v[180:183], v233 offset:3744
	s_waitcnt vmcnt(10) lgkmcnt(2)
	v_mul_f64 v[8:9], v[242:243], v[190:191]
	v_mul_f64 v[186:187], v[240:241], v[190:191]
	v_fma_f64 v[184:185], v[240:241], v[188:189], -v[8:9]
	v_fmac_f64_e32 v[186:187], v[242:243], v[188:189]
	ds_read_b128 v[188:191], v233 offset:4992
	ds_write_b128 v233, v[184:187] offset:2496
	s_waitcnt vmcnt(9) lgkmcnt(2)
	v_mul_f64 v[8:9], v[182:183], v[194:195]
	v_mul_f64 v[186:187], v[180:181], v[194:195]
	v_fma_f64 v[184:185], v[180:181], v[192:193], -v[8:9]
	v_fmac_f64_e32 v[186:187], v[182:183], v[192:193]
	ds_read_b128 v[180:183], v233 offset:6240
	ds_write_b128 v233, v[184:187] offset:3744
	;; [unrolled: 7-line block ×4, first 2 shown]
	s_waitcnt vmcnt(6) lgkmcnt(3)
	v_mul_f64 v[8:9], v[190:191], v[2:3]
	v_mul_f64 v[186:187], v[188:189], v[2:3]
	v_fma_f64 v[184:185], v[188:189], v[0:1], -v[8:9]
	v_fmac_f64_e32 v[186:187], v[190:191], v[0:1]
	ds_write_b128 v233, v[184:187] offset:7488
	s_waitcnt vmcnt(5) lgkmcnt(2)
	v_mul_f64 v[0:1], v[182:183], v[6:7]
	ds_read_b128 v[184:187], v233 offset:9984
	v_mul_f64 v[2:3], v[180:181], v[6:7]
	v_fma_f64 v[0:1], v[180:181], v[4:5], -v[0:1]
	v_fmac_f64_e32 v[2:3], v[182:183], v[4:5]
	ds_write_b128 v233, v[0:3] offset:8736
	ds_read_b128 v[0:3], v233 offset:11232
	ds_read_b128 v[180:183], v233 offset:12480
	s_waitcnt vmcnt(4) lgkmcnt(3)
	v_mul_f64 v[4:5], v[186:187], v[208:209]
	v_mul_f64 v[6:7], v[184:185], v[208:209]
	v_fma_f64 v[4:5], v[184:185], v[206:207], -v[4:5]
	v_fmac_f64_e32 v[6:7], v[186:187], v[206:207]
	ds_write_b128 v233, v[4:7] offset:9984
	s_waitcnt vmcnt(3) lgkmcnt(2)
	v_mul_f64 v[4:5], v[2:3], v[212:213]
	v_mul_f64 v[6:7], v[0:1], v[212:213]
	v_fma_f64 v[4:5], v[0:1], v[210:211], -v[4:5]
	v_fmac_f64_e32 v[6:7], v[2:3], v[210:211]
	ds_read_b128 v[0:3], v233 offset:13728
	ds_write_b128 v233, v[4:7] offset:11232
	s_waitcnt vmcnt(2) lgkmcnt(3)
	v_mul_f64 v[4:5], v[182:183], v[220:221]
	v_mul_f64 v[6:7], v[180:181], v[220:221]
	v_fma_f64 v[4:5], v[180:181], v[218:219], -v[4:5]
	v_fmac_f64_e32 v[6:7], v[182:183], v[218:219]
	ds_write_b128 v233, v[4:7] offset:12480
	ds_read_b128 v[4:7], v233 offset:14976
	s_waitcnt vmcnt(1) lgkmcnt(3)
	v_mul_f64 v[8:9], v[2:3], v[224:225]
	v_mul_f64 v[182:183], v[0:1], v[224:225]
	v_fma_f64 v[180:181], v[0:1], v[222:223], -v[8:9]
	v_fmac_f64_e32 v[182:183], v[2:3], v[222:223]
	s_waitcnt vmcnt(0) lgkmcnt(0)
	v_mul_f64 v[0:1], v[6:7], v[228:229]
	v_mul_f64 v[2:3], v[4:5], v[228:229]
	v_fma_f64 v[0:1], v[4:5], v[226:227], -v[0:1]
	v_fmac_f64_e32 v[2:3], v[6:7], v[226:227]
	ds_write_b128 v233, v[248:251]
	ds_write_b128 v233, v[180:183] offset:13728
	ds_write_b128 v233, v[0:3] offset:14976
	s_waitcnt lgkmcnt(0)
	s_barrier
	ds_read_b128 v[0:3], v233
	ds_read_b128 v[4:7], v233 offset:1248
	ds_read_b128 v[212:215], v233 offset:2496
	;; [unrolled: 1-line block ×12, first 2 shown]
	s_waitcnt lgkmcnt(11)
	v_add_f64 v[10:11], v[2:3], v[6:7]
	v_add_f64 v[8:9], v[0:1], v[4:5]
	s_waitcnt lgkmcnt(10)
	v_add_f64 v[10:11], v[10:11], v[214:215]
	v_add_f64 v[8:9], v[8:9], v[212:213]
	;; [unrolled: 3-line block ×12, first 2 shown]
	v_add_f64 v[184:185], v[8:9], v[226:227]
	v_add_f64 v[8:9], v[4:5], v[226:227]
	v_add_f64 v[4:5], v[4:5], -v[226:227]
	v_mul_f64 v[16:17], v[10:11], s[20:21]
	v_mul_f64 v[24:25], v[10:11], s[14:15]
	;; [unrolled: 1-line block ×6, first 2 shown]
	v_add_f64 v[6:7], v[6:7], -v[228:229]
	v_fma_f64 v[18:19], s[40:41], v[4:5], v[16:17]
	v_fmac_f64_e32 v[16:17], s[18:19], v[4:5]
	v_fma_f64 v[26:27], s[42:43], v[4:5], v[24:25]
	v_fmac_f64_e32 v[24:25], s[12:13], v[4:5]
	;; [unrolled: 2-line block ×6, first 2 shown]
	v_mul_f64 v[12:13], v[6:7], s[18:19]
	v_add_f64 v[18:19], v[2:3], v[18:19]
	v_add_f64 v[16:17], v[2:3], v[16:17]
	v_mul_f64 v[20:21], v[6:7], s[12:13]
	v_add_f64 v[26:27], v[2:3], v[26:27]
	v_add_f64 v[24:25], v[2:3], v[24:25]
	;; [unrolled: 3-line block ×6, first 2 shown]
	v_add_f64 v[10:11], v[214:215], -v[224:225]
	v_fma_f64 v[14:15], s[20:21], v[8:9], v[12:13]
	v_fma_f64 v[12:13], v[8:9], s[20:21], -v[12:13]
	v_fma_f64 v[22:23], s[14:15], v[8:9], v[20:21]
	v_fma_f64 v[20:21], v[8:9], s[14:15], -v[20:21]
	;; [unrolled: 2-line block ×6, first 2 shown]
	v_add_f64 v[4:5], v[212:213], v[222:223]
	v_add_f64 v[8:9], v[212:213], -v[222:223]
	v_mul_f64 v[212:213], v[10:11], s[12:13]
	v_add_f64 v[14:15], v[0:1], v[14:15]
	v_add_f64 v[12:13], v[0:1], v[12:13]
	;; [unrolled: 1-line block ×13, first 2 shown]
	v_fma_f64 v[214:215], s[14:15], v[4:5], v[212:213]
	v_add_f64 v[14:15], v[214:215], v[14:15]
	v_mul_f64 v[214:215], v[6:7], s[14:15]
	v_fma_f64 v[212:213], v[4:5], s[14:15], -v[212:213]
	v_fma_f64 v[222:223], s[42:43], v[8:9], v[214:215]
	v_add_f64 v[12:13], v[212:213], v[12:13]
	v_fmac_f64_e32 v[214:215], s[12:13], v[8:9]
	v_mul_f64 v[212:213], v[10:11], s[16:17]
	v_add_f64 v[16:17], v[214:215], v[16:17]
	v_fma_f64 v[214:215], s[22:23], v[4:5], v[212:213]
	v_add_f64 v[22:23], v[214:215], v[22:23]
	v_mul_f64 v[214:215], v[6:7], s[22:23]
	v_fma_f64 v[212:213], v[4:5], s[22:23], -v[212:213]
	v_add_f64 v[18:19], v[222:223], v[18:19]
	v_fma_f64 v[222:223], s[38:39], v[8:9], v[214:215]
	v_add_f64 v[20:21], v[212:213], v[20:21]
	v_fmac_f64_e32 v[214:215], s[16:17], v[8:9]
	v_mul_f64 v[212:213], v[10:11], s[30:31]
	v_add_f64 v[24:25], v[214:215], v[24:25]
	v_fma_f64 v[214:215], s[34:35], v[4:5], v[212:213]
	v_add_f64 v[30:31], v[214:215], v[30:31]
	v_mul_f64 v[214:215], v[6:7], s[34:35]
	v_fma_f64 v[212:213], v[4:5], s[34:35], -v[212:213]
	v_add_f64 v[26:27], v[222:223], v[26:27]
	v_fma_f64 v[222:223], s[44:45], v[8:9], v[214:215]
	v_add_f64 v[28:29], v[212:213], v[28:29]
	v_fmac_f64_e32 v[214:215], s[30:31], v[8:9]
	v_mul_f64 v[212:213], v[10:11], s[36:37]
	v_add_f64 v[32:33], v[214:215], v[32:33]
	v_fma_f64 v[214:215], s[26:27], v[4:5], v[212:213]
	v_fma_f64 v[212:213], v[4:5], s[26:27], -v[212:213]
	v_add_f64 v[34:35], v[222:223], v[34:35]
	v_mul_f64 v[222:223], v[6:7], s[26:27]
	v_add_f64 v[212:213], v[212:213], v[226:227]
	v_mul_f64 v[226:227], v[10:11], s[28:29]
	v_add_f64 v[214:215], v[214:215], v[228:229]
	v_fma_f64 v[224:225], s[24:25], v[8:9], v[222:223]
	v_fmac_f64_e32 v[222:223], s[36:37], v[8:9]
	v_fma_f64 v[228:229], s[10:11], v[4:5], v[226:227]
	v_fma_f64 v[226:227], v[4:5], s[10:11], -v[226:227]
	v_mul_f64 v[10:11], v[10:11], s[40:41]
	v_add_f64 v[222:223], v[222:223], v[230:231]
	v_mul_f64 v[230:231], v[6:7], s[10:11]
	v_add_f64 v[226:227], v[226:227], v[240:241]
	v_fma_f64 v[240:241], s[20:21], v[4:5], v[10:11]
	v_mul_f64 v[6:7], v[6:7], s[20:21]
	v_fma_f64 v[4:5], v[4:5], s[20:21], -v[10:11]
	v_add_f64 v[10:11], v[210:211], -v[220:221]
	v_add_f64 v[224:225], v[224:225], v[234:235]
	v_add_f64 v[228:229], v[228:229], v[242:243]
	v_fma_f64 v[234:235], s[8:9], v[8:9], v[230:231]
	v_fmac_f64_e32 v[230:231], s[28:29], v[8:9]
	v_fma_f64 v[242:243], s[18:19], v[8:9], v[6:7]
	v_add_f64 v[0:1], v[4:5], v[0:1]
	v_fmac_f64_e32 v[6:7], s[40:41], v[8:9]
	v_add_f64 v[4:5], v[208:209], v[218:219]
	v_add_f64 v[8:9], v[208:209], -v[218:219]
	v_mul_f64 v[208:209], v[10:11], s[8:9]
	v_add_f64 v[2:3], v[6:7], v[2:3]
	v_add_f64 v[6:7], v[210:211], v[220:221]
	v_fma_f64 v[210:211], s[10:11], v[4:5], v[208:209]
	v_add_f64 v[14:15], v[210:211], v[14:15]
	v_mul_f64 v[210:211], v[6:7], s[10:11]
	v_fma_f64 v[208:209], v[4:5], s[10:11], -v[208:209]
	v_fma_f64 v[218:219], s[28:29], v[8:9], v[210:211]
	v_add_f64 v[12:13], v[208:209], v[12:13]
	v_fmac_f64_e32 v[210:211], s[8:9], v[8:9]
	v_mul_f64 v[208:209], v[10:11], s[30:31]
	v_add_f64 v[16:17], v[210:211], v[16:17]
	v_fma_f64 v[210:211], s[34:35], v[4:5], v[208:209]
	v_add_f64 v[22:23], v[210:211], v[22:23]
	v_mul_f64 v[210:211], v[6:7], s[34:35]
	v_fma_f64 v[208:209], v[4:5], s[34:35], -v[208:209]
	v_add_f64 v[18:19], v[218:219], v[18:19]
	v_fma_f64 v[218:219], s[44:45], v[8:9], v[210:211]
	v_add_f64 v[20:21], v[208:209], v[20:21]
	v_fmac_f64_e32 v[210:211], s[30:31], v[8:9]
	v_mul_f64 v[208:209], v[10:11], s[38:39]
	v_add_f64 v[24:25], v[210:211], v[24:25]
	v_fma_f64 v[210:211], s[22:23], v[4:5], v[208:209]
	v_add_f64 v[30:31], v[210:211], v[30:31]
	v_mul_f64 v[210:211], v[6:7], s[22:23]
	v_fma_f64 v[208:209], v[4:5], s[22:23], -v[208:209]
	v_add_f64 v[26:27], v[218:219], v[26:27]
	v_fma_f64 v[218:219], s[16:17], v[8:9], v[210:211]
	v_add_f64 v[28:29], v[208:209], v[28:29]
	v_fmac_f64_e32 v[210:211], s[38:39], v[8:9]
	v_mul_f64 v[208:209], v[10:11], s[40:41]
	v_add_f64 v[32:33], v[210:211], v[32:33]
	v_fma_f64 v[210:211], s[20:21], v[4:5], v[208:209]
	v_add_f64 v[210:211], v[210:211], v[214:215]
	v_mul_f64 v[214:215], v[6:7], s[20:21]
	v_add_f64 v[34:35], v[218:219], v[34:35]
	v_fma_f64 v[218:219], s[18:19], v[8:9], v[214:215]
	v_fma_f64 v[208:209], v[4:5], s[20:21], -v[208:209]
	v_fmac_f64_e32 v[214:215], s[40:41], v[8:9]
	v_add_f64 v[208:209], v[208:209], v[212:213]
	v_add_f64 v[212:213], v[214:215], v[222:223]
	v_mul_f64 v[214:215], v[10:11], s[12:13]
	v_fma_f64 v[220:221], s[14:15], v[4:5], v[214:215]
	v_fma_f64 v[214:215], v[4:5], s[14:15], -v[214:215]
	v_mul_f64 v[10:11], v[10:11], s[24:25]
	v_mul_f64 v[222:223], v[6:7], s[14:15]
	v_add_f64 v[214:215], v[214:215], v[226:227]
	v_fma_f64 v[226:227], s[26:27], v[4:5], v[10:11]
	v_mul_f64 v[6:7], v[6:7], s[26:27]
	v_fma_f64 v[4:5], v[4:5], s[26:27], -v[10:11]
	v_add_f64 v[10:11], v[202:203], -v[206:207]
	v_add_f64 v[218:219], v[218:219], v[224:225]
	v_add_f64 v[220:221], v[220:221], v[228:229]
	v_fma_f64 v[224:225], s[42:43], v[8:9], v[222:223]
	v_fmac_f64_e32 v[222:223], s[12:13], v[8:9]
	v_fma_f64 v[228:229], s[36:37], v[8:9], v[6:7]
	v_add_f64 v[0:1], v[4:5], v[0:1]
	v_fmac_f64_e32 v[6:7], s[24:25], v[8:9]
	v_add_f64 v[4:5], v[200:201], v[204:205]
	v_add_f64 v[8:9], v[200:201], -v[204:205]
	v_mul_f64 v[200:201], v[10:11], s[16:17]
	v_add_f64 v[2:3], v[6:7], v[2:3]
	v_add_f64 v[6:7], v[202:203], v[206:207]
	v_fma_f64 v[202:203], s[22:23], v[4:5], v[200:201]
	v_add_f64 v[14:15], v[202:203], v[14:15]
	v_mul_f64 v[202:203], v[6:7], s[22:23]
	v_fma_f64 v[200:201], v[4:5], s[22:23], -v[200:201]
	v_fma_f64 v[204:205], s[38:39], v[8:9], v[202:203]
	v_add_f64 v[12:13], v[200:201], v[12:13]
	v_fmac_f64_e32 v[202:203], s[16:17], v[8:9]
	v_mul_f64 v[200:201], v[10:11], s[36:37]
	v_add_f64 v[16:17], v[202:203], v[16:17]
	v_fma_f64 v[202:203], s[26:27], v[4:5], v[200:201]
	v_add_f64 v[22:23], v[202:203], v[22:23]
	v_mul_f64 v[202:203], v[6:7], s[26:27]
	v_fma_f64 v[200:201], v[4:5], s[26:27], -v[200:201]
	v_add_f64 v[18:19], v[204:205], v[18:19]
	v_fma_f64 v[204:205], s[24:25], v[8:9], v[202:203]
	v_add_f64 v[20:21], v[200:201], v[20:21]
	v_fmac_f64_e32 v[202:203], s[36:37], v[8:9]
	v_mul_f64 v[200:201], v[10:11], s[40:41]
	v_add_f64 v[24:25], v[202:203], v[24:25]
	v_fma_f64 v[202:203], s[20:21], v[4:5], v[200:201]
	v_add_f64 v[30:31], v[202:203], v[30:31]
	v_mul_f64 v[202:203], v[6:7], s[20:21]
	v_fma_f64 v[200:201], v[4:5], s[20:21], -v[200:201]
	v_add_f64 v[26:27], v[204:205], v[26:27]
	v_fma_f64 v[204:205], s[18:19], v[8:9], v[202:203]
	v_add_f64 v[28:29], v[200:201], v[28:29]
	v_fmac_f64_e32 v[202:203], s[40:41], v[8:9]
	v_mul_f64 v[200:201], v[10:11], s[8:9]
	v_add_f64 v[32:33], v[202:203], v[32:33]
	v_fma_f64 v[202:203], s[10:11], v[4:5], v[200:201]
	v_fma_f64 v[200:201], v[4:5], s[10:11], -v[200:201]
	v_add_f64 v[34:35], v[204:205], v[34:35]
	v_mul_f64 v[204:205], v[6:7], s[10:11]
	v_add_f64 v[200:201], v[200:201], v[208:209]
	v_mul_f64 v[208:209], v[10:11], s[44:45]
	v_add_f64 v[202:203], v[202:203], v[210:211]
	v_fma_f64 v[206:207], s[28:29], v[8:9], v[204:205]
	v_fmac_f64_e32 v[204:205], s[8:9], v[8:9]
	v_fma_f64 v[210:211], s[34:35], v[4:5], v[208:209]
	v_fma_f64 v[208:209], v[4:5], s[34:35], -v[208:209]
	v_mul_f64 v[10:11], v[10:11], s[42:43]
	v_add_f64 v[204:205], v[204:205], v[212:213]
	v_mul_f64 v[212:213], v[6:7], s[34:35]
	v_add_f64 v[208:209], v[208:209], v[214:215]
	v_fma_f64 v[214:215], s[14:15], v[4:5], v[10:11]
	v_mul_f64 v[6:7], v[6:7], s[14:15]
	v_fma_f64 v[4:5], v[4:5], s[14:15], -v[10:11]
	v_add_f64 v[10:11], v[194:195], -v[198:199]
	v_add_f64 v[206:207], v[206:207], v[218:219]
	v_add_f64 v[210:211], v[210:211], v[220:221]
	v_fma_f64 v[218:219], s[30:31], v[8:9], v[212:213]
	v_fmac_f64_e32 v[212:213], s[44:45], v[8:9]
	v_fma_f64 v[220:221], s[12:13], v[8:9], v[6:7]
	v_add_f64 v[0:1], v[4:5], v[0:1]
	v_fmac_f64_e32 v[6:7], s[42:43], v[8:9]
	v_add_f64 v[4:5], v[192:193], v[196:197]
	v_add_f64 v[8:9], v[192:193], -v[196:197]
	v_mul_f64 v[192:193], v[10:11], s[24:25]
	v_add_f64 v[2:3], v[6:7], v[2:3]
	v_add_f64 v[6:7], v[194:195], v[198:199]
	v_fma_f64 v[194:195], s[26:27], v[4:5], v[192:193]
	v_add_f64 v[14:15], v[194:195], v[14:15]
	v_mul_f64 v[194:195], v[6:7], s[26:27]
	v_fma_f64 v[192:193], v[4:5], s[26:27], -v[192:193]
	v_fma_f64 v[196:197], s[36:37], v[8:9], v[194:195]
	v_add_f64 v[12:13], v[192:193], v[12:13]
	v_fmac_f64_e32 v[194:195], s[24:25], v[8:9]
	v_mul_f64 v[192:193], v[10:11], s[28:29]
	v_add_f64 v[16:17], v[194:195], v[16:17]
	v_fma_f64 v[194:195], s[10:11], v[4:5], v[192:193]
	v_add_f64 v[22:23], v[194:195], v[22:23]
	v_mul_f64 v[194:195], v[6:7], s[10:11]
	v_fma_f64 v[192:193], v[4:5], s[10:11], -v[192:193]
	v_add_f64 v[18:19], v[196:197], v[18:19]
	v_fma_f64 v[196:197], s[8:9], v[8:9], v[194:195]
	v_add_f64 v[20:21], v[192:193], v[20:21]
	v_fmac_f64_e32 v[194:195], s[28:29], v[8:9]
	v_mul_f64 v[192:193], v[10:11], s[12:13]
	v_add_f64 v[24:25], v[194:195], v[24:25]
	v_fma_f64 v[194:195], s[14:15], v[4:5], v[192:193]
	v_add_f64 v[30:31], v[194:195], v[30:31]
	v_mul_f64 v[194:195], v[6:7], s[14:15]
	v_fma_f64 v[192:193], v[4:5], s[14:15], -v[192:193]
	v_add_f64 v[26:27], v[196:197], v[26:27]
	v_fma_f64 v[196:197], s[42:43], v[8:9], v[194:195]
	v_add_f64 v[28:29], v[192:193], v[28:29]
	v_fmac_f64_e32 v[194:195], s[12:13], v[8:9]
	v_mul_f64 v[192:193], v[10:11], s[44:45]
	v_add_f64 v[230:231], v[230:231], v[244:245]
	v_add_f64 v[32:33], v[194:195], v[32:33]
	v_fma_f64 v[194:195], s[34:35], v[4:5], v[192:193]
	v_add_f64 v[234:235], v[234:235], v[246:247]
	v_add_f64 v[222:223], v[222:223], v[230:231]
	;; [unrolled: 1-line block ×3, first 2 shown]
	v_mul_f64 v[194:195], v[6:7], s[34:35]
	v_fma_f64 v[192:193], v[4:5], s[34:35], -v[192:193]
	v_add_f64 v[240:241], v[240:241], v[248:249]
	v_add_f64 v[224:225], v[224:225], v[234:235]
	;; [unrolled: 1-line block ×4, first 2 shown]
	v_fma_f64 v[196:197], s[30:31], v[8:9], v[194:195]
	v_add_f64 v[222:223], v[192:193], v[200:201]
	v_fmac_f64_e32 v[194:195], s[44:45], v[8:9]
	v_mul_f64 v[192:193], v[10:11], s[40:41]
	v_add_f64 v[226:227], v[226:227], v[240:241]
	v_add_f64 v[218:219], v[218:219], v[224:225]
	;; [unrolled: 1-line block ×3, first 2 shown]
	v_fma_f64 v[194:195], s[20:21], v[4:5], v[192:193]
	v_fma_f64 v[192:193], v[4:5], s[20:21], -v[192:193]
	v_mul_f64 v[10:11], v[10:11], s[16:17]
	v_add_f64 v[214:215], v[214:215], v[226:227]
	v_add_f64 v[226:227], v[192:193], v[208:209]
	v_fma_f64 v[192:193], s[22:23], v[4:5], v[10:11]
	v_fma_f64 v[4:5], v[4:5], s[22:23], -v[10:11]
	v_add_f64 v[244:245], v[182:183], -v[190:191]
	v_add_f64 v[210:211], v[194:195], v[210:211]
	v_mul_f64 v[194:195], v[6:7], s[20:21]
	v_mul_f64 v[6:7], v[6:7], s[22:23]
	v_add_f64 v[10:11], v[4:5], v[0:1]
	v_add_f64 v[234:235], v[180:181], v[188:189]
	v_mul_f64 v[4:5], v[244:245], s[30:31]
	v_add_f64 v[242:243], v[242:243], v[250:251]
	v_add_f64 v[230:231], v[192:193], v[214:215]
	v_fma_f64 v[192:193], s[38:39], v[8:9], v[6:7]
	v_fmac_f64_e32 v[6:7], s[16:17], v[8:9]
	v_add_f64 v[240:241], v[182:183], v[190:191]
	v_fma_f64 v[0:1], s[34:35], v[234:235], v[4:5]
	v_fma_f64 v[4:5], v[234:235], s[34:35], -v[4:5]
	v_add_f64 v[228:229], v[228:229], v[242:243]
	v_add_f64 v[206:207], v[196:197], v[206:207]
	v_fma_f64 v[196:197], s[18:19], v[8:9], v[194:195]
	v_fmac_f64_e32 v[194:195], s[40:41], v[8:9]
	v_add_f64 v[8:9], v[6:7], v[2:3]
	v_add_f64 v[242:243], v[180:181], -v[188:189]
	v_mul_f64 v[6:7], v[240:241], s[34:35]
	v_add_f64 v[180:181], v[4:5], v[12:13]
	v_mul_f64 v[12:13], v[244:245], s[40:41]
	v_add_f64 v[0:1], v[0:1], v[14:15]
	v_fma_f64 v[2:3], s[44:45], v[242:243], v[6:7]
	v_fmac_f64_e32 v[6:7], s[30:31], v[242:243]
	v_fma_f64 v[4:5], s[20:21], v[234:235], v[12:13]
	v_mul_f64 v[14:15], v[240:241], s[20:21]
	v_fma_f64 v[12:13], v[234:235], s[20:21], -v[12:13]
	v_add_f64 v[182:183], v[6:7], v[16:17]
	v_fma_f64 v[6:7], s[18:19], v[242:243], v[14:15]
	v_add_f64 v[188:189], v[12:13], v[20:21]
	v_fmac_f64_e32 v[14:15], s[40:41], v[242:243]
	v_mul_f64 v[12:13], v[244:245], s[24:25]
	v_add_f64 v[220:221], v[220:221], v[228:229]
	v_add_f64 v[190:191], v[14:15], v[24:25]
	v_fma_f64 v[14:15], s[26:27], v[234:235], v[12:13]
	v_add_f64 v[220:221], v[192:193], v[220:221]
	v_add_f64 v[192:193], v[14:15], v[30:31]
	v_mul_f64 v[14:15], v[240:241], s[26:27]
	v_fma_f64 v[12:13], v[234:235], s[26:27], -v[12:13]
	v_add_f64 v[218:219], v[196:197], v[218:219]
	v_fma_f64 v[16:17], s[36:37], v[242:243], v[14:15]
	v_add_f64 v[196:197], v[12:13], v[28:29]
	v_fmac_f64_e32 v[14:15], s[24:25], v[242:243]
	v_mul_f64 v[12:13], v[244:245], s[42:43]
	v_add_f64 v[198:199], v[14:15], v[32:33]
	v_fma_f64 v[14:15], s[14:15], v[234:235], v[12:13]
	v_add_f64 v[200:201], v[14:15], v[202:203]
	v_mul_f64 v[14:15], v[240:241], s[14:15]
	v_fma_f64 v[12:13], v[234:235], s[14:15], -v[12:13]
	v_add_f64 v[228:229], v[194:195], v[212:213]
	v_add_f64 v[194:195], v[16:17], v[34:35]
	v_fma_f64 v[16:17], s[12:13], v[242:243], v[14:15]
	v_add_f64 v[204:205], v[12:13], v[222:223]
	v_fmac_f64_e32 v[14:15], s[42:43], v[242:243]
	v_mul_f64 v[12:13], v[244:245], s[16:17]
	v_add_f64 v[202:203], v[16:17], v[206:207]
	v_add_f64 v[206:207], v[14:15], v[224:225]
	v_fma_f64 v[14:15], s[22:23], v[234:235], v[12:13]
	v_add_f64 v[208:209], v[14:15], v[210:211]
	v_mul_f64 v[14:15], v[240:241], s[22:23]
	v_fma_f64 v[12:13], v[234:235], s[22:23], -v[12:13]
	v_fma_f64 v[16:17], s[38:39], v[242:243], v[14:15]
	v_add_f64 v[212:213], v[12:13], v[226:227]
	v_fmac_f64_e32 v[14:15], s[16:17], v[242:243]
	v_mul_f64 v[12:13], v[244:245], s[28:29]
	v_add_f64 v[214:215], v[14:15], v[228:229]
	v_fma_f64 v[14:15], s[10:11], v[234:235], v[12:13]
	v_add_f64 v[210:211], v[16:17], v[218:219]
	v_add_f64 v[218:219], v[14:15], v[230:231]
	v_mul_f64 v[14:15], v[240:241], s[10:11]
	v_fma_f64 v[16:17], s[8:9], v[242:243], v[14:15]
	v_fma_f64 v[12:13], v[234:235], s[10:11], -v[12:13]
	v_fmac_f64_e32 v[14:15], s[28:29], v[242:243]
	v_add_f64 v[220:221], v[16:17], v[220:221]
	v_add_f64 v[222:223], v[12:13], v[10:11]
	;; [unrolled: 1-line block ×6, first 2 shown]
	s_barrier
	ds_write_b128 v216, v[184:187]
	ds_write_b128 v216, v[0:3] offset:16
	ds_write_b128 v216, v[4:7] offset:32
	;; [unrolled: 1-line block ×12, first 2 shown]
	s_waitcnt lgkmcnt(0)
	s_barrier
	ds_read_b128 v[188:191], v233
	ds_read_b128 v[184:187], v233 offset:1248
	ds_read_b128 v[228:231], v233 offset:2704
	;; [unrolled: 1-line block ×11, first 2 shown]
	s_and_saveexec_b64 s[0:1], vcc
	s_cbranch_execz .LBB0_7
; %bb.6:
	ds_read_b128 v[180:183], v233 offset:2496
	ds_read_b128 v[112:115], v233 offset:5200
	;; [unrolled: 1-line block ×6, first 2 shown]
.LBB0_7:
	s_or_b64 exec, exec, s[0:1]
	s_waitcnt lgkmcnt(9)
	v_mul_f64 v[0:1], v[86:87], v[228:229]
	v_fma_f64 v[10:11], v[84:85], v[230:231], -v[0:1]
	s_waitcnt lgkmcnt(7)
	v_mul_f64 v[0:1], v[82:83], v[226:227]
	s_waitcnt lgkmcnt(3)
	v_mul_f64 v[12:13], v[74:75], v[218:219]
	v_mul_f64 v[14:15], v[74:75], v[216:217]
	v_fmac_f64_e32 v[0:1], v[80:81], v[224:225]
	v_fmac_f64_e32 v[12:13], v[72:73], v[216:217]
	v_fma_f64 v[14:15], v[72:73], v[218:219], -v[14:15]
	s_waitcnt lgkmcnt(0)
	v_mul_f64 v[72:73], v[106:107], v[192:193]
	v_mul_f64 v[2:3], v[82:83], v[224:225]
	;; [unrolled: 1-line block ×6, first 2 shown]
	v_fma_f64 v[90:91], v[104:105], v[194:195], -v[72:73]
	v_add_f64 v[72:73], v[188:189], v[0:1]
	v_fma_f64 v[2:3], v[80:81], v[226:227], -v[2:3]
	v_fmac_f64_e32 v[4:5], v[76:77], v[220:221]
	v_fma_f64 v[6:7], v[76:77], v[222:223], -v[6:7]
	v_add_f64 v[76:77], v[72:73], v[12:13]
	v_add_f64 v[72:73], v[0:1], v[12:13]
	s_mov_b32 s0, 0xe8584caa
	v_fmac_f64_e32 v[188:189], -0.5, v[72:73]
	v_add_f64 v[72:73], v[2:3], -v[14:15]
	s_mov_b32 s1, 0xbfebb67a
	s_mov_b32 s9, 0x3febb67a
	;; [unrolled: 1-line block ×3, first 2 shown]
	v_mul_f64 v[8:9], v[86:87], v[230:231]
	v_fma_f64 v[78:79], s[0:1], v[72:73], v[188:189]
	v_fmac_f64_e32 v[188:189], s[8:9], v[72:73]
	v_add_f64 v[72:73], v[190:191], v[2:3]
	v_add_f64 v[2:3], v[2:3], v[14:15]
	v_fmac_f64_e32 v[8:9], v[84:85], v[228:229]
	v_fmac_f64_e32 v[190:191], -0.5, v[2:3]
	v_add_f64 v[0:1], v[0:1], -v[12:13]
	v_fmac_f64_e32 v[16:17], v[88:89], v[212:213]
	v_fma_f64 v[12:13], s[8:9], v[0:1], v[190:191]
	v_fmac_f64_e32 v[190:191], s[0:1], v[0:1]
	v_add_f64 v[0:1], v[8:9], v[4:5]
	v_fma_f64 v[18:19], v[88:89], v[214:215], -v[18:19]
	v_add_f64 v[82:83], v[72:73], v[14:15]
	v_add_f64 v[14:15], v[0:1], v[16:17]
	;; [unrolled: 1-line block ×3, first 2 shown]
	v_fmac_f64_e32 v[8:9], -0.5, v[0:1]
	v_add_f64 v[0:1], v[6:7], -v[18:19]
	v_fma_f64 v[74:75], s[0:1], v[0:1], v[8:9]
	v_fmac_f64_e32 v[8:9], s[8:9], v[0:1]
	v_add_f64 v[0:1], v[10:11], v[6:7]
	v_add_f64 v[86:87], v[0:1], v[18:19]
	;; [unrolled: 1-line block ×3, first 2 shown]
	v_fmac_f64_e32 v[10:11], -0.5, v[0:1]
	v_add_f64 v[0:1], v[4:5], -v[16:17]
	v_fma_f64 v[6:7], s[8:9], v[0:1], v[10:11]
	v_fmac_f64_e32 v[10:11], s[0:1], v[0:1]
	v_mul_f64 v[24:25], v[98:99], v[206:207]
	v_mul_f64 v[28:29], v[94:95], v[202:203]
	v_mul_f64 v[30:31], v[94:95], v[200:201]
	v_mul_f64 v[32:33], v[110:111], v[198:199]
	v_mul_f64 v[16:17], v[6:7], s[0:1]
	v_mul_f64 v[18:19], v[10:11], s[0:1]
	v_mul_f64 v[10:11], v[10:11], -0.5
	v_fmac_f64_e32 v[24:25], v[96:97], v[204:205]
	v_mul_f64 v[26:27], v[98:99], v[204:205]
	v_fmac_f64_e32 v[28:29], v[92:93], v[200:201]
	v_fma_f64 v[30:31], v[92:93], v[202:203], -v[30:31]
	v_fmac_f64_e32 v[32:33], v[108:109], v[196:197]
	v_mul_f64 v[34:35], v[110:111], v[196:197]
	v_fmac_f64_e32 v[16:17], 0.5, v[74:75]
	v_mul_f64 v[92:93], v[6:7], 0.5
	v_fmac_f64_e32 v[10:11], s[8:9], v[8:9]
	v_fma_f64 v[26:27], v[96:97], v[206:207], -v[26:27]
	v_fma_f64 v[34:35], v[108:109], v[198:199], -v[34:35]
	v_mul_f64 v[88:89], v[106:107], v[194:195]
	v_add_f64 v[4:5], v[78:79], v[16:17]
	v_add_f64 v[2:3], v[82:83], v[86:87]
	v_fmac_f64_e32 v[92:93], s[8:9], v[74:75]
	v_add_f64 v[74:75], v[190:191], v[10:11]
	v_add_f64 v[80:81], v[78:79], -v[16:17]
	v_add_f64 v[78:79], v[82:83], -v[86:87]
	;; [unrolled: 1-line block ×3, first 2 shown]
	v_add_f64 v[10:11], v[24:25], v[32:33]
	v_mul_f64 v[20:21], v[102:103], v[210:211]
	v_fmac_f64_e32 v[88:89], v[104:105], v[192:193]
	v_add_f64 v[0:1], v[76:77], v[14:15]
	v_fmac_f64_e32 v[18:19], -0.5, v[8:9]
	v_add_f64 v[76:77], v[76:77], -v[14:15]
	v_add_f64 v[8:9], v[184:185], v[24:25]
	v_fmac_f64_e32 v[184:185], -0.5, v[10:11]
	v_add_f64 v[10:11], v[26:27], -v[34:35]
	v_add_f64 v[14:15], v[26:27], v[34:35]
	v_fmac_f64_e32 v[20:21], v[100:101], v[208:209]
	v_mul_f64 v[22:23], v[102:103], v[208:209]
	v_add_f64 v[72:73], v[188:189], v[18:19]
	v_add_f64 v[6:7], v[12:13], v[92:93]
	v_add_f64 v[84:85], v[188:189], -v[18:19]
	v_add_f64 v[82:83], v[12:13], -v[92:93]
	v_fma_f64 v[12:13], s[0:1], v[10:11], v[184:185]
	v_fmac_f64_e32 v[184:185], s[8:9], v[10:11]
	v_add_f64 v[10:11], v[186:187], v[26:27]
	v_fmac_f64_e32 v[186:187], -0.5, v[14:15]
	v_add_f64 v[14:15], v[24:25], -v[32:33]
	v_add_f64 v[18:19], v[28:29], v[88:89]
	v_fma_f64 v[22:23], v[100:101], v[210:211], -v[22:23]
	v_fma_f64 v[16:17], s[8:9], v[14:15], v[186:187]
	v_fmac_f64_e32 v[186:187], s[0:1], v[14:15]
	v_add_f64 v[14:15], v[20:21], v[28:29]
	v_fmac_f64_e32 v[20:21], -0.5, v[18:19]
	v_add_f64 v[18:19], v[30:31], -v[90:91]
	v_add_f64 v[26:27], v[30:31], v[90:91]
	v_fma_f64 v[24:25], s[0:1], v[18:19], v[20:21]
	v_fmac_f64_e32 v[20:21], s[8:9], v[18:19]
	v_add_f64 v[18:19], v[22:23], v[30:31]
	v_fmac_f64_e32 v[22:23], -0.5, v[26:27]
	v_add_f64 v[26:27], v[28:29], -v[88:89]
	v_fma_f64 v[28:29], s[8:9], v[26:27], v[22:23]
	v_fmac_f64_e32 v[22:23], s[0:1], v[26:27]
	v_mul_f64 v[26:27], v[28:29], s[0:1]
	v_mul_f64 v[30:31], v[22:23], s[0:1]
	v_mul_f64 v[28:29], v[28:29], 0.5
	v_mul_f64 v[22:23], v[22:23], -0.5
	v_add_f64 v[8:9], v[8:9], v[32:33]
	v_add_f64 v[10:11], v[10:11], v[34:35]
	;; [unrolled: 1-line block ×4, first 2 shown]
	v_fmac_f64_e32 v[26:27], 0.5, v[24:25]
	v_fmac_f64_e32 v[30:31], -0.5, v[20:21]
	v_fmac_f64_e32 v[28:29], s[8:9], v[24:25]
	v_fmac_f64_e32 v[22:23], s[8:9], v[20:21]
	v_add_f64 v[88:89], v[8:9], v[14:15]
	v_add_f64 v[92:93], v[12:13], v[26:27]
	;; [unrolled: 1-line block ×6, first 2 shown]
	v_add_f64 v[100:101], v[8:9], -v[14:15]
	v_add_f64 v[104:105], v[12:13], -v[26:27]
	;; [unrolled: 1-line block ×6, first 2 shown]
	s_barrier
	ds_write_b128 v237, v[0:3]
	ds_write_b128 v237, v[4:7] offset:208
	ds_write_b128 v237, v[72:75] offset:416
	;; [unrolled: 1-line block ×5, first 2 shown]
	ds_write_b128 v238, v[88:91]
	ds_write_b128 v238, v[92:95] offset:208
	ds_write_b128 v238, v[96:99] offset:416
	;; [unrolled: 1-line block ×5, first 2 shown]
	s_and_saveexec_b64 s[10:11], vcc
	s_cbranch_execz .LBB0_9
; %bb.8:
	v_mul_f64 v[0:1], v[66:67], v[128:129]
	v_mul_f64 v[2:3], v[62:63], v[144:145]
	v_fma_f64 v[0:1], v[64:65], v[130:131], -v[0:1]
	v_fma_f64 v[4:5], v[60:61], v[146:147], -v[2:3]
	v_mul_f64 v[18:19], v[58:59], v[134:135]
	v_mul_f64 v[20:21], v[70:71], v[142:143]
	v_add_f64 v[2:3], v[0:1], v[4:5]
	v_mul_f64 v[16:17], v[54:55], v[114:115]
	v_fmac_f64_e32 v[18:19], v[56:57], v[132:133]
	v_fmac_f64_e32 v[20:21], v[68:69], v[140:141]
	v_fma_f64 v[8:9], -0.5, v[2:3], v[182:183]
	v_fmac_f64_e32 v[16:17], v[52:53], v[112:113]
	v_add_f64 v[2:3], v[18:19], v[20:21]
	v_fma_f64 v[22:23], -0.5, v[2:3], v[16:17]
	v_mul_f64 v[2:3], v[58:59], v[132:133]
	v_fma_f64 v[24:25], v[56:57], v[134:135], -v[2:3]
	v_mul_f64 v[2:3], v[70:71], v[140:141]
	v_fma_f64 v[26:27], v[68:69], v[142:143], -v[2:3]
	;; [unrolled: 2-line block ×3, first 2 shown]
	v_add_f64 v[2:3], v[24:25], v[26:27]
	v_mul_f64 v[10:11], v[66:67], v[130:131]
	v_mul_f64 v[12:13], v[62:63], v[146:147]
	v_fma_f64 v[34:35], -0.5, v[2:3], v[32:33]
	v_add_f64 v[52:53], v[18:19], -v[20:21]
	v_fmac_f64_e32 v[10:11], v[64:65], v[128:129]
	v_fmac_f64_e32 v[12:13], v[60:61], v[144:145]
	v_add_f64 v[28:29], v[24:25], -v[26:27]
	v_fma_f64 v[56:57], s[0:1], v[52:53], v[34:35]
	v_fmac_f64_e32 v[34:35], s[8:9], v[52:53]
	v_add_f64 v[24:25], v[32:33], v[24:25]
	v_add_f64 v[6:7], v[10:11], -v[12:13]
	v_fma_f64 v[30:31], s[8:9], v[28:29], v[22:23]
	v_fmac_f64_e32 v[22:23], s[0:1], v[28:29]
	v_mul_f64 v[28:29], v[34:35], 0.5
	v_add_f64 v[24:25], v[24:25], v[26:27]
	v_add_f64 v[26:27], v[10:11], v[12:13]
	v_add_f64 v[10:11], v[180:181], v[10:11]
	v_fma_f64 v[14:15], s[0:1], v[6:7], v[8:9]
	v_mul_f64 v[58:59], v[56:57], -0.5
	v_fmac_f64_e32 v[8:9], s[8:9], v[6:7]
	v_fmac_f64_e32 v[28:29], s[8:9], v[22:23]
	v_add_f64 v[52:53], v[182:183], v[0:1]
	v_mul_f64 v[56:57], v[56:57], s[0:1]
	v_add_f64 v[10:11], v[10:11], v[12:13]
	v_add_f64 v[12:13], v[16:17], v[18:19]
	v_fmac_f64_e32 v[58:59], s[8:9], v[30:31]
	v_add_f64 v[6:7], v[8:9], -v[28:29]
	v_add_f64 v[60:61], v[52:53], v[4:5]
	v_fma_f64 v[26:27], -0.5, v[26:27], v[180:181]
	v_add_f64 v[4:5], v[0:1], -v[4:5]
	v_fmac_f64_e32 v[56:57], -0.5, v[30:31]
	v_mul_f64 v[30:31], v[34:35], s[0:1]
	v_add_f64 v[12:13], v[12:13], v[20:21]
	v_add_f64 v[62:63], v[8:9], v[28:29]
	v_and_b32_e32 v8, 0xff, v236
	v_fma_f64 v[32:33], s[8:9], v[4:5], v[26:27]
	v_fmac_f64_e32 v[26:27], s[0:1], v[4:5]
	v_fmac_f64_e32 v[30:31], 0.5, v[22:23]
	v_add_f64 v[66:67], v[60:61], v[24:25]
	v_add_f64 v[64:65], v[10:11], v[12:13]
	v_lshl_add_u32 v8, v8, 4, v239
	v_add_f64 v[2:3], v[14:15], -v[58:59]
	v_add_f64 v[54:55], v[60:61], -v[24:25]
	;; [unrolled: 1-line block ×5, first 2 shown]
	v_add_f64 v[58:59], v[14:15], v[58:59]
	v_add_f64 v[56:57], v[32:33], v[56:57]
	;; [unrolled: 1-line block ×3, first 2 shown]
	ds_write_b128 v8, v[64:67] offset:14976
	ds_write_b128 v8, v[60:63] offset:15184
	;; [unrolled: 1-line block ×6, first 2 shown]
.LBB0_9:
	s_or_b64 exec, exec, s[10:11]
	s_waitcnt lgkmcnt(0)
	s_barrier
	ds_read_b128 v[56:59], v233
	ds_read_b128 v[0:3], v233 offset:1248
	ds_read_b128 v[4:7], v233 offset:2496
	;; [unrolled: 1-line block ×12, first 2 shown]
	s_waitcnt lgkmcnt(11)
	v_mul_f64 v[8:9], v[138:139], v[2:3]
	v_fmac_f64_e32 v[8:9], v[136:137], v[0:1]
	v_mul_f64 v[0:1], v[138:139], v[0:1]
	v_fma_f64 v[0:1], v[136:137], v[2:3], -v[0:1]
	s_waitcnt lgkmcnt(10)
	v_mul_f64 v[2:3], v[126:127], v[6:7]
	v_fmac_f64_e32 v[2:3], v[124:125], v[4:5]
	v_mul_f64 v[4:5], v[126:127], v[4:5]
	v_fma_f64 v[4:5], v[124:125], v[6:7], -v[4:5]
	s_waitcnt lgkmcnt(9)
	v_mul_f64 v[6:7], v[122:123], v[52:53]
	v_add_f64 v[18:19], v[58:59], v[0:1]
	v_mul_f64 v[90:91], v[122:123], v[54:55]
	v_fma_f64 v[92:93], v[120:121], v[54:55], -v[6:7]
	s_waitcnt lgkmcnt(8)
	v_mul_f64 v[6:7], v[118:119], v[66:67]
	v_add_f64 v[16:17], v[56:57], v[8:9]
	v_add_f64 v[18:19], v[18:19], v[4:5]
	v_fmac_f64_e32 v[90:91], v[120:121], v[52:53]
	v_mul_f64 v[82:83], v[118:119], v[68:69]
	v_fma_f64 v[84:85], v[116:117], v[68:69], -v[6:7]
	s_waitcnt lgkmcnt(7)
	v_mul_f64 v[6:7], v[162:163], v[70:71]
	v_add_f64 v[16:17], v[16:17], v[2:3]
	v_add_f64 v[18:19], v[18:19], v[92:93]
	v_fmac_f64_e32 v[82:83], v[116:117], v[66:67]
	;; [unrolled: 7-line block ×8, first 2 shown]
	v_mul_f64 v[6:7], v[170:171], v[108:109]
	v_fma_f64 v[10:11], v[168:169], v[108:109], -v[10:11]
	s_waitcnt lgkmcnt(0)
	v_mul_f64 v[14:15], v[166:167], v[110:111]
	v_add_f64 v[16:17], v[16:17], v[86:87]
	v_add_f64 v[18:19], v[18:19], v[96:97]
	v_mov_b32_e32 v60, s2
	v_mov_b32_e32 v61, s3
	v_accvgpr_read_b32 v128, a0
	v_fmac_f64_e32 v[6:7], v[168:169], v[106:107]
	v_mul_f64 v[12:13], v[166:167], v[112:113]
	v_fma_f64 v[14:15], v[164:165], v[112:113], -v[14:15]
	v_add_f64 v[16:17], v[16:17], v[94:95]
	v_add_f64 v[18:19], v[18:19], v[10:11]
	s_mov_b32 s18, 0xe00740e9
	s_mov_b32 s12, 0x1ea71119
	;; [unrolled: 1-line block ×6, first 2 shown]
	v_mad_u64_u32 v[62:63], s[0:1], s6, v128, 0
	v_fmac_f64_e32 v[12:13], v[164:165], v[110:111]
	v_add_f64 v[16:17], v[16:17], v[6:7]
	v_add_f64 v[54:55], v[18:19], v[14:15]
	;; [unrolled: 1-line block ×3, first 2 shown]
	s_mov_b32 s19, 0x3fec55a7
	s_mov_b32 s13, 0x3fe22d96
	;; [unrolled: 1-line block ×7, first 2 shown]
	v_add_f64 v[52:53], v[16:17], v[12:13]
	v_add_f64 v[16:17], v[8:9], v[12:13]
	v_add_f64 v[8:9], v[8:9], -v[12:13]
	s_mov_b32 s16, 0x4267c47c
	v_mul_f64 v[20:21], v[18:19], s[18:19]
	s_mov_b32 s10, 0x42a4c3d2
	v_mul_f64 v[28:29], v[18:19], s[12:13]
	;; [unrolled: 2-line block ×6, first 2 shown]
	s_mov_b32 s41, 0x3fcea1e5
	s_mov_b32 s40, s36
	v_add_f64 v[0:1], v[0:1], -v[14:15]
	s_mov_b32 s17, 0xbfddbe06
	s_mov_b32 s21, 0x3fddbe06
	;; [unrolled: 1-line block ×15, first 2 shown]
	v_fma_f64 v[120:121], s[40:41], v[8:9], v[18:19]
	v_fmac_f64_e32 v[18:19], s[36:37], v[8:9]
	v_mul_f64 v[12:13], v[0:1], s[16:17]
	v_fma_f64 v[22:23], s[20:21], v[8:9], v[20:21]
	v_fmac_f64_e32 v[20:21], s[16:17], v[8:9]
	v_mul_f64 v[24:25], v[0:1], s[10:11]
	;; [unrolled: 3-line block ×6, first 2 shown]
	v_add_f64 v[8:9], v[58:59], v[18:19]
	v_add_f64 v[18:19], v[4:5], v[10:11]
	v_add_f64 v[4:5], v[4:5], -v[10:11]
	v_fma_f64 v[14:15], s[18:19], v[16:17], v[12:13]
	v_fma_f64 v[12:13], v[16:17], s[18:19], -v[12:13]
	v_fma_f64 v[26:27], s[12:13], v[16:17], v[24:25]
	v_fma_f64 v[24:25], v[16:17], s[12:13], -v[24:25]
	;; [unrolled: 2-line block ×6, first 2 shown]
	v_add_f64 v[16:17], v[2:3], v[6:7]
	v_add_f64 v[2:3], v[2:3], -v[6:7]
	v_mul_f64 v[6:7], v[4:5], s[10:11]
	v_add_f64 v[14:15], v[56:57], v[14:15]
	v_fma_f64 v[10:11], s[12:13], v[16:17], v[6:7]
	v_add_f64 v[10:11], v[10:11], v[14:15]
	v_mul_f64 v[14:15], v[18:19], s[12:13]
	v_add_f64 v[12:13], v[56:57], v[12:13]
	v_add_f64 v[20:21], v[58:59], v[20:21]
	;; [unrolled: 1-line block ×12, first 2 shown]
	v_fma_f64 v[56:57], s[14:15], v[2:3], v[14:15]
	v_fma_f64 v[6:7], v[16:17], s[12:13], -v[6:7]
	v_fmac_f64_e32 v[14:15], s[10:11], v[2:3]
	v_add_f64 v[6:7], v[6:7], v[12:13]
	v_add_f64 v[12:13], v[14:15], v[20:21]
	v_mul_f64 v[14:15], v[4:5], s[22:23]
	v_fma_f64 v[20:21], s[24:25], v[16:17], v[14:15]
	v_add_f64 v[22:23], v[58:59], v[22:23]
	v_add_f64 v[20:21], v[20:21], v[26:27]
	v_mul_f64 v[26:27], v[18:19], s[24:25]
	v_add_f64 v[28:29], v[58:59], v[28:29]
	v_add_f64 v[22:23], v[56:57], v[22:23]
	v_fma_f64 v[56:57], s[26:27], v[2:3], v[26:27]
	v_fma_f64 v[14:15], v[16:17], s[24:25], -v[14:15]
	v_fmac_f64_e32 v[26:27], s[22:23], v[2:3]
	v_add_f64 v[14:15], v[14:15], v[24:25]
	v_add_f64 v[24:25], v[26:27], v[28:29]
	v_mul_f64 v[26:27], v[4:5], s[36:37]
	v_fma_f64 v[28:29], s[38:39], v[16:17], v[26:27]
	v_add_f64 v[30:31], v[58:59], v[30:31]
	v_add_f64 v[28:29], v[28:29], v[34:35]
	v_mul_f64 v[34:35], v[18:19], s[38:39]
	v_add_f64 v[98:99], v[58:59], v[98:99]
	v_add_f64 v[30:31], v[56:57], v[30:31]
	v_fma_f64 v[56:57], s[40:41], v[2:3], v[34:35]
	v_fma_f64 v[26:27], v[16:17], s[38:39], -v[26:27]
	v_fmac_f64_e32 v[34:35], s[36:37], v[2:3]
	v_add_f64 v[26:27], v[26:27], v[32:33]
	v_add_f64 v[32:33], v[34:35], v[98:99]
	v_mul_f64 v[34:35], v[4:5], s[34:35]
	v_add_f64 v[100:101], v[58:59], v[100:101]
	v_add_f64 v[108:109], v[58:59], v[108:109]
	;; [unrolled: 1-line block ×6, first 2 shown]
	v_fma_f64 v[58:59], s[30:31], v[16:17], v[34:35]
	v_mul_f64 v[98:99], v[18:19], s[30:31]
	v_fma_f64 v[34:35], v[16:17], s[30:31], -v[34:35]
	v_add_f64 v[56:57], v[56:57], v[100:101]
	v_fma_f64 v[100:101], s[28:29], v[2:3], v[98:99]
	v_add_f64 v[34:35], v[34:35], v[102:103]
	v_fmac_f64_e32 v[98:99], s[34:35], v[2:3]
	v_mul_f64 v[102:103], v[4:5], s[8:9]
	v_add_f64 v[58:59], v[58:59], v[104:105]
	v_add_f64 v[98:99], v[98:99], v[106:107]
	v_fma_f64 v[104:105], s[2:3], v[16:17], v[102:103]
	v_mul_f64 v[106:107], v[18:19], s[2:3]
	v_mul_f64 v[18:19], v[18:19], s[18:19]
	v_add_f64 v[104:105], v[104:105], v[112:113]
	v_fma_f64 v[102:103], v[16:17], s[2:3], -v[102:103]
	v_mul_f64 v[4:5], v[4:5], s[20:21]
	v_fma_f64 v[112:113], s[16:17], v[2:3], v[18:19]
	v_fmac_f64_e32 v[18:19], s[20:21], v[2:3]
	v_add_f64 v[100:101], v[100:101], v[108:109]
	v_fma_f64 v[108:109], s[0:1], v[2:3], v[106:107]
	v_add_f64 v[102:103], v[102:103], v[110:111]
	v_fmac_f64_e32 v[106:107], s[8:9], v[2:3]
	v_fma_f64 v[110:111], s[18:19], v[16:17], v[4:5]
	v_fma_f64 v[4:5], v[16:17], s[18:19], -v[4:5]
	v_add_f64 v[2:3], v[18:19], v[8:9]
	v_add_f64 v[18:19], v[92:93], -v[96:97]
	v_add_f64 v[0:1], v[4:5], v[0:1]
	v_add_f64 v[4:5], v[90:91], v[94:95]
	v_add_f64 v[16:17], v[90:91], -v[94:95]
	v_mul_f64 v[90:91], v[18:19], s[0:1]
	v_add_f64 v[8:9], v[92:93], v[96:97]
	v_fma_f64 v[92:93], s[2:3], v[4:5], v[90:91]
	v_add_f64 v[10:11], v[92:93], v[10:11]
	v_mul_f64 v[92:93], v[8:9], s[2:3]
	v_fma_f64 v[90:91], v[4:5], s[2:3], -v[90:91]
	v_fma_f64 v[94:95], s[8:9], v[16:17], v[92:93]
	v_add_f64 v[6:7], v[90:91], v[6:7]
	v_fmac_f64_e32 v[92:93], s[0:1], v[16:17]
	v_mul_f64 v[90:91], v[18:19], s[36:37]
	v_add_f64 v[12:13], v[92:93], v[12:13]
	v_fma_f64 v[92:93], s[38:39], v[4:5], v[90:91]
	v_add_f64 v[20:21], v[92:93], v[20:21]
	v_mul_f64 v[92:93], v[8:9], s[38:39]
	v_fma_f64 v[90:91], v[4:5], s[38:39], -v[90:91]
	v_add_f64 v[22:23], v[94:95], v[22:23]
	v_fma_f64 v[94:95], s[40:41], v[16:17], v[92:93]
	v_add_f64 v[14:15], v[90:91], v[14:15]
	v_fmac_f64_e32 v[92:93], s[36:37], v[16:17]
	v_mul_f64 v[90:91], v[18:19], s[26:27]
	v_add_f64 v[24:25], v[92:93], v[24:25]
	v_fma_f64 v[92:93], s[24:25], v[4:5], v[90:91]
	v_add_f64 v[28:29], v[92:93], v[28:29]
	v_mul_f64 v[92:93], v[8:9], s[24:25]
	v_fma_f64 v[90:91], v[4:5], s[24:25], -v[90:91]
	v_add_f64 v[30:31], v[94:95], v[30:31]
	v_fma_f64 v[94:95], s[22:23], v[16:17], v[92:93]
	v_add_f64 v[26:27], v[90:91], v[26:27]
	v_fmac_f64_e32 v[92:93], s[26:27], v[16:17]
	v_mul_f64 v[90:91], v[18:19], s[20:21]
	v_add_f64 v[32:33], v[92:93], v[32:33]
	v_fma_f64 v[92:93], s[18:19], v[4:5], v[90:91]
	v_add_f64 v[58:59], v[92:93], v[58:59]
	v_mul_f64 v[92:93], v[8:9], s[18:19]
	v_add_f64 v[56:57], v[94:95], v[56:57]
	v_fma_f64 v[94:95], s[16:17], v[16:17], v[92:93]
	v_fma_f64 v[90:91], v[4:5], s[18:19], -v[90:91]
	v_fmac_f64_e32 v[92:93], s[20:21], v[16:17]
	v_add_f64 v[34:35], v[90:91], v[34:35]
	v_add_f64 v[90:91], v[92:93], v[98:99]
	v_mul_f64 v[92:93], v[18:19], s[10:11]
	v_fma_f64 v[96:97], s[12:13], v[4:5], v[92:93]
	v_fma_f64 v[92:93], v[4:5], s[12:13], -v[92:93]
	v_mul_f64 v[18:19], v[18:19], s[28:29]
	v_mul_f64 v[98:99], v[8:9], s[12:13]
	v_add_f64 v[92:93], v[92:93], v[102:103]
	v_fma_f64 v[102:103], s[30:31], v[4:5], v[18:19]
	v_mul_f64 v[8:9], v[8:9], s[30:31]
	v_fma_f64 v[4:5], v[4:5], s[30:31], -v[18:19]
	v_add_f64 v[18:19], v[84:85], -v[88:89]
	v_add_f64 v[94:95], v[94:95], v[100:101]
	v_add_f64 v[96:97], v[96:97], v[104:105]
	v_fma_f64 v[100:101], s[14:15], v[16:17], v[98:99]
	v_fmac_f64_e32 v[98:99], s[10:11], v[16:17]
	v_fma_f64 v[104:105], s[34:35], v[16:17], v[8:9]
	v_add_f64 v[0:1], v[4:5], v[0:1]
	v_fmac_f64_e32 v[8:9], s[28:29], v[16:17]
	v_add_f64 v[4:5], v[82:83], v[86:87]
	v_add_f64 v[16:17], v[82:83], -v[86:87]
	v_mul_f64 v[82:83], v[18:19], s[22:23]
	v_add_f64 v[2:3], v[8:9], v[2:3]
	v_add_f64 v[8:9], v[84:85], v[88:89]
	v_fma_f64 v[84:85], s[24:25], v[4:5], v[82:83]
	v_add_f64 v[10:11], v[84:85], v[10:11]
	v_mul_f64 v[84:85], v[8:9], s[24:25]
	v_fma_f64 v[82:83], v[4:5], s[24:25], -v[82:83]
	v_fma_f64 v[86:87], s[26:27], v[16:17], v[84:85]
	v_add_f64 v[6:7], v[82:83], v[6:7]
	v_fmac_f64_e32 v[84:85], s[22:23], v[16:17]
	v_mul_f64 v[82:83], v[18:19], s[34:35]
	v_add_f64 v[12:13], v[84:85], v[12:13]
	v_fma_f64 v[84:85], s[30:31], v[4:5], v[82:83]
	v_add_f64 v[20:21], v[84:85], v[20:21]
	v_mul_f64 v[84:85], v[8:9], s[30:31]
	v_fma_f64 v[82:83], v[4:5], s[30:31], -v[82:83]
	v_add_f64 v[22:23], v[86:87], v[22:23]
	v_fma_f64 v[86:87], s[28:29], v[16:17], v[84:85]
	v_add_f64 v[14:15], v[82:83], v[14:15]
	v_fmac_f64_e32 v[84:85], s[34:35], v[16:17]
	v_mul_f64 v[82:83], v[18:19], s[20:21]
	v_add_f64 v[24:25], v[84:85], v[24:25]
	v_fma_f64 v[84:85], s[18:19], v[4:5], v[82:83]
	v_add_f64 v[28:29], v[84:85], v[28:29]
	v_mul_f64 v[84:85], v[8:9], s[18:19]
	v_fma_f64 v[82:83], v[4:5], s[18:19], -v[82:83]
	v_add_f64 v[30:31], v[86:87], v[30:31]
	v_fma_f64 v[86:87], s[16:17], v[16:17], v[84:85]
	v_add_f64 v[26:27], v[82:83], v[26:27]
	v_fmac_f64_e32 v[84:85], s[20:21], v[16:17]
	v_mul_f64 v[82:83], v[18:19], s[0:1]
	v_add_f64 v[32:33], v[84:85], v[32:33]
	v_fma_f64 v[84:85], s[2:3], v[4:5], v[82:83]
	v_add_f64 v[58:59], v[84:85], v[58:59]
	v_mul_f64 v[84:85], v[8:9], s[2:3]
	v_add_f64 v[56:57], v[86:87], v[56:57]
	v_fma_f64 v[86:87], s[8:9], v[16:17], v[84:85]
	v_fma_f64 v[82:83], v[4:5], s[2:3], -v[82:83]
	v_fmac_f64_e32 v[84:85], s[0:1], v[16:17]
	v_add_f64 v[34:35], v[82:83], v[34:35]
	v_add_f64 v[82:83], v[84:85], v[90:91]
	v_mul_f64 v[84:85], v[18:19], s[40:41]
	v_fma_f64 v[88:89], s[38:39], v[4:5], v[84:85]
	v_fma_f64 v[84:85], v[4:5], s[38:39], -v[84:85]
	v_mul_f64 v[18:19], v[18:19], s[14:15]
	v_mul_f64 v[90:91], v[8:9], s[38:39]
	v_add_f64 v[84:85], v[84:85], v[92:93]
	v_fma_f64 v[92:93], s[12:13], v[4:5], v[18:19]
	v_mul_f64 v[8:9], v[8:9], s[12:13]
	v_fma_f64 v[4:5], v[4:5], s[12:13], -v[18:19]
	v_add_f64 v[18:19], v[76:77], -v[80:81]
	v_add_f64 v[86:87], v[86:87], v[94:95]
	v_add_f64 v[88:89], v[88:89], v[96:97]
	v_fma_f64 v[94:95], s[36:37], v[16:17], v[90:91]
	v_fmac_f64_e32 v[90:91], s[40:41], v[16:17]
	v_fma_f64 v[96:97], s[10:11], v[16:17], v[8:9]
	v_add_f64 v[0:1], v[4:5], v[0:1]
	v_fmac_f64_e32 v[8:9], s[14:15], v[16:17]
	v_add_f64 v[4:5], v[74:75], v[78:79]
	v_add_f64 v[16:17], v[74:75], -v[78:79]
	v_mul_f64 v[74:75], v[18:19], s[28:29]
	v_add_f64 v[2:3], v[8:9], v[2:3]
	v_add_f64 v[8:9], v[76:77], v[80:81]
	v_fma_f64 v[76:77], s[30:31], v[4:5], v[74:75]
	v_add_f64 v[10:11], v[76:77], v[10:11]
	v_mul_f64 v[76:77], v[8:9], s[30:31]
	v_fma_f64 v[74:75], v[4:5], s[30:31], -v[74:75]
	v_fma_f64 v[78:79], s[34:35], v[16:17], v[76:77]
	v_add_f64 v[6:7], v[74:75], v[6:7]
	v_fmac_f64_e32 v[76:77], s[28:29], v[16:17]
	v_mul_f64 v[74:75], v[18:19], s[8:9]
	v_add_f64 v[12:13], v[76:77], v[12:13]
	v_fma_f64 v[76:77], s[2:3], v[4:5], v[74:75]
	v_add_f64 v[20:21], v[76:77], v[20:21]
	v_mul_f64 v[76:77], v[8:9], s[2:3]
	v_fma_f64 v[74:75], v[4:5], s[2:3], -v[74:75]
	v_add_f64 v[22:23], v[78:79], v[22:23]
	v_fma_f64 v[78:79], s[0:1], v[16:17], v[76:77]
	v_add_f64 v[14:15], v[74:75], v[14:15]
	v_fmac_f64_e32 v[76:77], s[8:9], v[16:17]
	v_mul_f64 v[74:75], v[18:19], s[10:11]
	v_add_f64 v[24:25], v[76:77], v[24:25]
	v_fma_f64 v[76:77], s[12:13], v[4:5], v[74:75]
	v_add_f64 v[28:29], v[76:77], v[28:29]
	v_mul_f64 v[76:77], v[8:9], s[12:13]
	v_add_f64 v[30:31], v[78:79], v[30:31]
	v_fma_f64 v[78:79], s[14:15], v[16:17], v[76:77]
	v_add_f64 v[78:79], v[78:79], v[56:57]
	v_fma_f64 v[56:57], v[4:5], s[12:13], -v[74:75]
	v_add_f64 v[26:27], v[56:57], v[26:27]
	v_mul_f64 v[56:57], v[18:19], s[40:41]
	v_fma_f64 v[74:75], s[38:39], v[4:5], v[56:57]
	v_add_f64 v[106:107], v[106:107], v[114:115]
	v_add_f64 v[80:81], v[74:75], v[58:59]
	v_mul_f64 v[58:59], v[8:9], s[38:39]
	v_fma_f64 v[56:57], v[4:5], s[38:39], -v[56:57]
	v_add_f64 v[108:109], v[108:109], v[116:117]
	v_add_f64 v[110:111], v[110:111], v[118:119]
	;; [unrolled: 1-line block ×3, first 2 shown]
	v_fma_f64 v[74:75], s[36:37], v[16:17], v[58:59]
	v_add_f64 v[34:35], v[56:57], v[34:35]
	v_fmac_f64_e32 v[58:59], s[40:41], v[16:17]
	v_mul_f64 v[56:57], v[18:19], s[20:21]
	v_add_f64 v[112:113], v[112:113], v[120:121]
	v_add_f64 v[100:101], v[100:101], v[108:109]
	;; [unrolled: 1-line block ×5, first 2 shown]
	v_fma_f64 v[58:59], s[18:19], v[4:5], v[56:57]
	v_fma_f64 v[56:57], v[4:5], s[18:19], -v[56:57]
	v_mul_f64 v[18:19], v[18:19], s[22:23]
	v_add_f64 v[104:105], v[104:105], v[112:113]
	v_add_f64 v[94:95], v[94:95], v[100:101]
	;; [unrolled: 1-line block ×4, first 2 shown]
	v_mul_f64 v[58:59], v[8:9], s[18:19]
	v_add_f64 v[100:101], v[56:57], v[84:85]
	v_fma_f64 v[56:57], s[24:25], v[4:5], v[18:19]
	v_mul_f64 v[8:9], v[8:9], s[24:25]
	v_fma_f64 v[4:5], v[4:5], s[24:25], -v[18:19]
	v_add_f64 v[110:111], v[68:69], -v[72:73]
	v_add_f64 v[96:97], v[96:97], v[104:105]
	v_fmac_f64_e32 v[76:77], s[10:11], v[16:17]
	v_add_f64 v[86:87], v[74:75], v[86:87]
	v_fma_f64 v[74:75], s[16:17], v[16:17], v[58:59]
	v_fmac_f64_e32 v[58:59], s[20:21], v[16:17]
	v_add_f64 v[104:105], v[56:57], v[92:93]
	v_fma_f64 v[56:57], s[26:27], v[16:17], v[8:9]
	v_add_f64 v[18:19], v[4:5], v[0:1]
	v_fmac_f64_e32 v[8:9], s[22:23], v[16:17]
	v_add_f64 v[16:17], v[66:67], v[70:71]
	v_mul_f64 v[4:5], v[110:111], s[36:37]
	v_add_f64 v[106:107], v[68:69], v[72:73]
	v_fma_f64 v[0:1], s[38:39], v[16:17], v[4:5]
	v_add_f64 v[108:109], v[66:67], -v[70:71]
	v_add_f64 v[0:1], v[0:1], v[10:11]
	v_mul_f64 v[10:11], v[106:107], s[38:39]
	v_add_f64 v[8:9], v[8:9], v[2:3]
	v_fma_f64 v[2:3], s[40:41], v[108:109], v[10:11]
	v_fma_f64 v[4:5], v[16:17], s[38:39], -v[4:5]
	v_fmac_f64_e32 v[10:11], s[36:37], v[108:109]
	v_add_f64 v[4:5], v[4:5], v[6:7]
	v_add_f64 v[6:7], v[10:11], v[12:13]
	v_mul_f64 v[10:11], v[110:111], s[20:21]
	v_fma_f64 v[12:13], s[18:19], v[16:17], v[10:11]
	v_add_f64 v[96:97], v[56:57], v[96:97]
	v_add_f64 v[56:57], v[12:13], v[20:21]
	v_mul_f64 v[12:13], v[106:107], s[18:19]
	v_fma_f64 v[10:11], v[16:17], s[18:19], -v[10:11]
	v_fma_f64 v[20:21], s[16:17], v[108:109], v[12:13]
	v_add_f64 v[66:67], v[10:11], v[14:15]
	v_fmac_f64_e32 v[12:13], s[20:21], v[108:109]
	v_mul_f64 v[10:11], v[110:111], s[28:29]
	v_add_f64 v[68:69], v[12:13], v[24:25]
	v_fma_f64 v[12:13], s[30:31], v[16:17], v[10:11]
	v_add_f64 v[70:71], v[12:13], v[28:29]
	v_mul_f64 v[12:13], v[106:107], s[30:31]
	v_fma_f64 v[10:11], v[16:17], s[30:31], -v[10:11]
	v_add_f64 v[32:33], v[76:77], v[32:33]
	v_add_f64 v[94:95], v[74:75], v[94:95]
	v_fma_f64 v[14:15], s[34:35], v[108:109], v[12:13]
	v_add_f64 v[74:75], v[10:11], v[26:27]
	v_fmac_f64_e32 v[12:13], s[28:29], v[108:109]
	v_mul_f64 v[10:11], v[110:111], s[14:15]
	v_add_f64 v[76:77], v[12:13], v[32:33]
	v_fma_f64 v[12:13], s[12:13], v[16:17], v[10:11]
	v_add_f64 v[72:73], v[14:15], v[78:79]
	v_add_f64 v[78:79], v[12:13], v[80:81]
	v_mul_f64 v[12:13], v[106:107], s[12:13]
	v_fma_f64 v[10:11], v[16:17], s[12:13], -v[10:11]
	v_fma_f64 v[14:15], s[10:11], v[108:109], v[12:13]
	v_add_f64 v[82:83], v[10:11], v[34:35]
	v_fmac_f64_e32 v[12:13], s[14:15], v[108:109]
	v_mul_f64 v[10:11], v[110:111], s[22:23]
	v_add_f64 v[84:85], v[12:13], v[98:99]
	v_fma_f64 v[12:13], s[24:25], v[16:17], v[10:11]
	v_add_f64 v[80:81], v[14:15], v[86:87]
	v_add_f64 v[86:87], v[12:13], v[88:89]
	v_mul_f64 v[12:13], v[106:107], s[24:25]
	v_fma_f64 v[10:11], v[16:17], s[24:25], -v[10:11]
	v_add_f64 v[102:103], v[58:59], v[90:91]
	v_fma_f64 v[14:15], s[26:27], v[108:109], v[12:13]
	v_add_f64 v[90:91], v[10:11], v[100:101]
	v_fmac_f64_e32 v[12:13], s[22:23], v[108:109]
	v_mul_f64 v[10:11], v[110:111], s[8:9]
	v_add_f64 v[92:93], v[12:13], v[102:103]
	v_fma_f64 v[12:13], s[2:3], v[16:17], v[10:11]
	v_add_f64 v[88:89], v[14:15], v[94:95]
	v_add_f64 v[94:95], v[12:13], v[104:105]
	v_mul_f64 v[12:13], v[106:107], s[2:3]
	v_add_f64 v[2:3], v[2:3], v[22:23]
	v_fma_f64 v[14:15], s[0:1], v[108:109], v[12:13]
	v_fma_f64 v[10:11], v[16:17], s[2:3], -v[10:11]
	v_fmac_f64_e32 v[12:13], s[8:9], v[108:109]
	v_add_f64 v[58:59], v[20:21], v[30:31]
	v_add_f64 v[96:97], v[14:15], v[96:97]
	v_add_f64 v[98:99], v[10:11], v[18:19]
	v_add_f64 v[100:101], v[12:13], v[8:9]
	ds_write_b128 v233, v[52:55]
	ds_write_b128 v233, v[0:3] offset:1248
	ds_write_b128 v233, v[56:59] offset:2496
	;; [unrolled: 1-line block ×12, first 2 shown]
	s_waitcnt lgkmcnt(0)
	s_barrier
	ds_read_b128 v[0:3], v233
	v_mov_b32_e32 v64, v63
	v_accvgpr_read_b32 v13, a9
	v_mad_u64_u32 v[4:5], s[0:1], s7, v128, v[64:65]
	v_accvgpr_read_b32 v12, a8
	v_mov_b32_e32 v63, v4
	ds_read_b128 v[4:7], v233 offset:1248
	v_accvgpr_read_b32 v11, a7
	v_accvgpr_read_b32 v10, a6
	s_waitcnt lgkmcnt(1)
	v_mul_f64 v[8:9], v[12:13], v[2:3]
	v_fmac_f64_e32 v[8:9], v[10:11], v[0:1]
	s_mov_b32 s0, 0xfc7729e9
	v_mul_f64 v[0:1], v[12:13], v[0:1]
	s_mov_b32 s1, 0x3f502864
	v_fma_f64 v[0:1], v[10:11], v[2:3], -v[0:1]
	v_mul_f64 v[54:55], v[0:1], s[0:1]
	v_mad_u64_u32 v[0:1], s[2:3], s4, v232, 0
	v_mov_b32_e32 v2, v1
	v_mad_u64_u32 v[2:3], s[2:3], s5, v232, v[2:3]
	v_accvgpr_read_b32 v13, a5
	v_mov_b32_e32 v1, v2
	v_lshl_add_u64 v[2:3], v[62:63], 4, v[60:61]
	v_accvgpr_read_b32 v12, a4
	v_mul_f64 v[52:53], v[8:9], s[0:1]
	v_lshl_add_u64 v[8:9], v[0:1], 4, v[2:3]
	v_accvgpr_read_b32 v11, a3
	v_accvgpr_read_b32 v10, a2
	s_waitcnt lgkmcnt(0)
	v_mul_f64 v[0:1], v[12:13], v[6:7]
	v_mul_f64 v[2:3], v[12:13], v[4:5]
	v_fmac_f64_e32 v[0:1], v[10:11], v[4:5]
	v_fma_f64 v[2:3], v[10:11], v[6:7], -v[2:3]
	v_mov_b32_e32 v14, 0x4e0
	ds_read_b128 v[4:7], v233 offset:2496
	global_store_dwordx4 v[8:9], v[52:55], off
	v_mad_u64_u32 v[8:9], s[2:3], s4, v14, v[8:9]
	s_mul_i32 s2, s5, 0x4e0
	v_mul_f64 v[0:1], v[0:1], s[0:1]
	v_mul_f64 v[2:3], v[2:3], s[0:1]
	v_add_u32_e32 v9, s2, v9
	v_accvgpr_read_b32 v19, a17
	global_store_dwordx4 v[8:9], v[0:3], off
	ds_read_b128 v[0:3], v233 offset:3744
	v_accvgpr_read_b32 v18, a16
	v_accvgpr_read_b32 v17, a15
	;; [unrolled: 1-line block ×3, first 2 shown]
	s_waitcnt lgkmcnt(1)
	v_mul_f64 v[10:11], v[18:19], v[6:7]
	v_fmac_f64_e32 v[10:11], v[16:17], v[4:5]
	v_mul_f64 v[52:53], v[10:11], s[0:1]
	v_mul_f64 v[4:5], v[18:19], v[4:5]
	v_accvgpr_read_b32 v10, a10
	v_fma_f64 v[4:5], v[16:17], v[6:7], -v[4:5]
	v_accvgpr_read_b32 v12, a12
	v_accvgpr_read_b32 v13, a13
	v_mul_f64 v[54:55], v[4:5], s[0:1]
	v_accvgpr_read_b32 v11, a11
	s_waitcnt lgkmcnt(0)
	v_mul_f64 v[4:5], v[12:13], v[2:3]
	v_fmac_f64_e32 v[4:5], v[10:11], v[0:1]
	v_mul_f64 v[0:1], v[12:13], v[0:1]
	v_fma_f64 v[0:1], v[10:11], v[2:3], -v[0:1]
	v_mul_f64 v[6:7], v[0:1], s[0:1]
	ds_read_b128 v[0:3], v233 offset:4992
	v_mad_u64_u32 v[8:9], s[6:7], s4, v14, v[8:9]
	v_add_u32_e32 v9, s2, v9
	v_mad_u64_u32 v[12:13], s[6:7], s4, v14, v[8:9]
	v_accvgpr_read_b32 v16, a22
	v_mul_f64 v[4:5], v[4:5], s[0:1]
	v_add_u32_e32 v13, s2, v13
	v_accvgpr_read_b32 v18, a24
	v_accvgpr_read_b32 v19, a25
	global_store_dwordx4 v[8:9], v[52:55], off
	global_store_dwordx4 v[12:13], v[4:7], off
	ds_read_b128 v[4:7], v233 offset:6240
	v_accvgpr_read_b32 v17, a23
	s_waitcnt lgkmcnt(1)
	v_mul_f64 v[8:9], v[18:19], v[2:3]
	v_fmac_f64_e32 v[8:9], v[16:17], v[0:1]
	v_mul_f64 v[0:1], v[18:19], v[0:1]
	v_fma_f64 v[0:1], v[16:17], v[2:3], -v[0:1]
	v_mad_u64_u32 v[12:13], s[6:7], s4, v14, v[12:13]
	v_mul_f64 v[8:9], v[8:9], s[0:1]
	v_mul_f64 v[10:11], v[0:1], s[0:1]
	v_add_u32_e32 v13, s2, v13
	global_store_dwordx4 v[12:13], v[8:11], off
	v_mad_u64_u32 v[12:13], s[6:7], s4, v14, v[12:13]
	s_nop 0
	v_accvgpr_read_b32 v8, a18
	v_accvgpr_read_b32 v10, a20
	v_accvgpr_read_b32 v11, a21
	v_accvgpr_read_b32 v9, a19
	s_waitcnt lgkmcnt(0)
	v_mul_f64 v[0:1], v[10:11], v[6:7]
	v_mul_f64 v[2:3], v[10:11], v[4:5]
	v_fmac_f64_e32 v[0:1], v[8:9], v[4:5]
	v_fma_f64 v[2:3], v[8:9], v[6:7], -v[2:3]
	ds_read_b128 v[4:7], v233 offset:7488
	v_mul_f64 v[0:1], v[0:1], s[0:1]
	v_mul_f64 v[2:3], v[2:3], s[0:1]
	v_add_u32_e32 v13, s2, v13
	global_store_dwordx4 v[12:13], v[0:3], off
	ds_read_b128 v[0:3], v233 offset:8736
	s_waitcnt lgkmcnt(1)
	v_mul_f64 v[8:9], v[38:39], v[6:7]
	v_fmac_f64_e32 v[8:9], v[36:37], v[4:5]
	v_mul_f64 v[4:5], v[38:39], v[4:5]
	v_fma_f64 v[4:5], v[36:37], v[6:7], -v[4:5]
	v_mad_u64_u32 v[12:13], s[6:7], s4, v14, v[12:13]
	v_mul_f64 v[8:9], v[8:9], s[0:1]
	v_mul_f64 v[10:11], v[4:5], s[0:1]
	v_add_u32_e32 v13, s2, v13
	global_store_dwordx4 v[12:13], v[8:11], off
	v_accvgpr_read_b32 v6, a26
	v_accvgpr_read_b32 v7, a27
	v_accvgpr_read_b32 v8, a28
	v_accvgpr_read_b32 v9, a29
	s_waitcnt lgkmcnt(0)
	v_mul_f64 v[4:5], v[8:9], v[2:3]
	v_fmac_f64_e32 v[4:5], v[6:7], v[0:1]
	v_mul_f64 v[0:1], v[8:9], v[0:1]
	v_fma_f64 v[0:1], v[6:7], v[2:3], -v[0:1]
	v_mul_f64 v[6:7], v[0:1], s[0:1]
	ds_read_b128 v[0:3], v233 offset:9984
	v_mad_u64_u32 v[12:13], s[6:7], s4, v14, v[12:13]
	v_mul_f64 v[4:5], v[4:5], s[0:1]
	v_add_u32_e32 v13, s2, v13
	global_store_dwordx4 v[12:13], v[4:7], off
	ds_read_b128 v[4:7], v233 offset:11232
	s_waitcnt lgkmcnt(1)
	v_mul_f64 v[8:9], v[46:47], v[2:3]
	v_fmac_f64_e32 v[8:9], v[44:45], v[0:1]
	v_mul_f64 v[0:1], v[46:47], v[0:1]
	v_fma_f64 v[0:1], v[44:45], v[2:3], -v[0:1]
	v_mad_u64_u32 v[12:13], s[6:7], s4, v14, v[12:13]
	v_mul_f64 v[8:9], v[8:9], s[0:1]
	v_mul_f64 v[10:11], v[0:1], s[0:1]
	v_add_u32_e32 v13, s2, v13
	global_store_dwordx4 v[12:13], v[8:11], off
	v_mad_u64_u32 v[12:13], s[6:7], s4, v14, v[12:13]
	s_nop 0
	v_accvgpr_read_b32 v8, a34
	v_accvgpr_read_b32 v10, a36
	;; [unrolled: 1-line block ×4, first 2 shown]
	s_waitcnt lgkmcnt(0)
	v_mul_f64 v[0:1], v[10:11], v[6:7]
	v_mul_f64 v[2:3], v[10:11], v[4:5]
	v_fmac_f64_e32 v[0:1], v[8:9], v[4:5]
	v_fma_f64 v[2:3], v[8:9], v[6:7], -v[2:3]
	ds_read_b128 v[4:7], v233 offset:12480
	v_mul_f64 v[0:1], v[0:1], s[0:1]
	v_mul_f64 v[2:3], v[2:3], s[0:1]
	v_add_u32_e32 v13, s2, v13
	global_store_dwordx4 v[12:13], v[0:3], off
	ds_read_b128 v[0:3], v233 offset:13728
	v_accvgpr_read_b32 v16, a30
	v_accvgpr_read_b32 v18, a32
	;; [unrolled: 1-line block ×4, first 2 shown]
	s_waitcnt lgkmcnt(1)
	v_mul_f64 v[8:9], v[18:19], v[6:7]
	v_fmac_f64_e32 v[8:9], v[16:17], v[4:5]
	v_mul_f64 v[4:5], v[18:19], v[4:5]
	v_fma_f64 v[4:5], v[16:17], v[6:7], -v[4:5]
	v_mul_f64 v[10:11], v[4:5], s[0:1]
	s_waitcnt lgkmcnt(0)
	v_mul_f64 v[4:5], v[42:43], v[2:3]
	v_fmac_f64_e32 v[4:5], v[40:41], v[0:1]
	v_mul_f64 v[0:1], v[42:43], v[0:1]
	v_fma_f64 v[0:1], v[40:41], v[2:3], -v[0:1]
	v_mul_f64 v[6:7], v[0:1], s[0:1]
	ds_read_b128 v[0:3], v233 offset:14976
	v_mad_u64_u32 v[12:13], s[6:7], s4, v14, v[12:13]
	v_mul_f64 v[8:9], v[8:9], s[0:1]
	v_add_u32_e32 v13, s2, v13
	global_store_dwordx4 v[12:13], v[8:11], off
	v_mul_f64 v[4:5], v[4:5], s[0:1]
	s_nop 0
	v_mad_u64_u32 v[8:9], s[6:7], s4, v14, v[12:13]
	v_add_u32_e32 v9, s2, v9
	global_store_dwordx4 v[8:9], v[4:7], off
	s_waitcnt lgkmcnt(0)
	s_nop 0
	v_mul_f64 v[4:5], v[50:51], v[2:3]
	v_fmac_f64_e32 v[4:5], v[48:49], v[0:1]
	v_mul_f64 v[0:1], v[50:51], v[0:1]
	v_fma_f64 v[0:1], v[48:49], v[2:3], -v[0:1]
	v_mul_f64 v[4:5], v[4:5], s[0:1]
	v_mul_f64 v[6:7], v[0:1], s[0:1]
	v_mad_u64_u32 v[0:1], s[0:1], s4, v14, v[8:9]
	v_add_u32_e32 v1, s2, v1
	global_store_dwordx4 v[0:1], v[4:7], off
.LBB0_10:
	s_endpgm
	.section	.rodata,"a",@progbits
	.p2align	6, 0x0
	.amdhsa_kernel bluestein_single_back_len1014_dim1_dp_op_CI_CI
		.amdhsa_group_segment_fixed_size 32448
		.amdhsa_private_segment_fixed_size 0
		.amdhsa_kernarg_size 104
		.amdhsa_user_sgpr_count 2
		.amdhsa_user_sgpr_dispatch_ptr 0
		.amdhsa_user_sgpr_queue_ptr 0
		.amdhsa_user_sgpr_kernarg_segment_ptr 1
		.amdhsa_user_sgpr_dispatch_id 0
		.amdhsa_user_sgpr_kernarg_preload_length 0
		.amdhsa_user_sgpr_kernarg_preload_offset 0
		.amdhsa_user_sgpr_private_segment_size 0
		.amdhsa_uses_dynamic_stack 0
		.amdhsa_enable_private_segment 0
		.amdhsa_system_sgpr_workgroup_id_x 1
		.amdhsa_system_sgpr_workgroup_id_y 0
		.amdhsa_system_sgpr_workgroup_id_z 0
		.amdhsa_system_sgpr_workgroup_info 0
		.amdhsa_system_vgpr_workitem_id 0
		.amdhsa_next_free_vgpr 294
		.amdhsa_next_free_sgpr 46
		.amdhsa_accum_offset 256
		.amdhsa_reserve_vcc 1
		.amdhsa_float_round_mode_32 0
		.amdhsa_float_round_mode_16_64 0
		.amdhsa_float_denorm_mode_32 3
		.amdhsa_float_denorm_mode_16_64 3
		.amdhsa_dx10_clamp 1
		.amdhsa_ieee_mode 1
		.amdhsa_fp16_overflow 0
		.amdhsa_tg_split 0
		.amdhsa_exception_fp_ieee_invalid_op 0
		.amdhsa_exception_fp_denorm_src 0
		.amdhsa_exception_fp_ieee_div_zero 0
		.amdhsa_exception_fp_ieee_overflow 0
		.amdhsa_exception_fp_ieee_underflow 0
		.amdhsa_exception_fp_ieee_inexact 0
		.amdhsa_exception_int_div_zero 0
	.end_amdhsa_kernel
	.text
.Lfunc_end0:
	.size	bluestein_single_back_len1014_dim1_dp_op_CI_CI, .Lfunc_end0-bluestein_single_back_len1014_dim1_dp_op_CI_CI
                                        ; -- End function
	.section	.AMDGPU.csdata,"",@progbits
; Kernel info:
; codeLenInByte = 22740
; NumSgprs: 52
; NumVgprs: 256
; NumAgprs: 38
; TotalNumVgprs: 294
; ScratchSize: 0
; MemoryBound: 0
; FloatMode: 240
; IeeeMode: 1
; LDSByteSize: 32448 bytes/workgroup (compile time only)
; SGPRBlocks: 6
; VGPRBlocks: 36
; NumSGPRsForWavesPerEU: 52
; NumVGPRsForWavesPerEU: 294
; AccumOffset: 256
; Occupancy: 1
; WaveLimiterHint : 1
; COMPUTE_PGM_RSRC2:SCRATCH_EN: 0
; COMPUTE_PGM_RSRC2:USER_SGPR: 2
; COMPUTE_PGM_RSRC2:TRAP_HANDLER: 0
; COMPUTE_PGM_RSRC2:TGID_X_EN: 1
; COMPUTE_PGM_RSRC2:TGID_Y_EN: 0
; COMPUTE_PGM_RSRC2:TGID_Z_EN: 0
; COMPUTE_PGM_RSRC2:TIDIG_COMP_CNT: 0
; COMPUTE_PGM_RSRC3_GFX90A:ACCUM_OFFSET: 63
; COMPUTE_PGM_RSRC3_GFX90A:TG_SPLIT: 0
	.text
	.p2alignl 6, 3212836864
	.fill 256, 4, 3212836864
	.type	__hip_cuid_24f19e21fcc96b40,@object ; @__hip_cuid_24f19e21fcc96b40
	.section	.bss,"aw",@nobits
	.globl	__hip_cuid_24f19e21fcc96b40
__hip_cuid_24f19e21fcc96b40:
	.byte	0                               ; 0x0
	.size	__hip_cuid_24f19e21fcc96b40, 1

	.ident	"AMD clang version 19.0.0git (https://github.com/RadeonOpenCompute/llvm-project roc-6.4.0 25133 c7fe45cf4b819c5991fe208aaa96edf142730f1d)"
	.section	".note.GNU-stack","",@progbits
	.addrsig
	.addrsig_sym __hip_cuid_24f19e21fcc96b40
	.amdgpu_metadata
---
amdhsa.kernels:
  - .agpr_count:     38
    .args:
      - .actual_access:  read_only
        .address_space:  global
        .offset:         0
        .size:           8
        .value_kind:     global_buffer
      - .actual_access:  read_only
        .address_space:  global
        .offset:         8
        .size:           8
        .value_kind:     global_buffer
      - .actual_access:  read_only
        .address_space:  global
        .offset:         16
        .size:           8
        .value_kind:     global_buffer
      - .actual_access:  read_only
        .address_space:  global
        .offset:         24
        .size:           8
        .value_kind:     global_buffer
      - .actual_access:  read_only
        .address_space:  global
        .offset:         32
        .size:           8
        .value_kind:     global_buffer
      - .offset:         40
        .size:           8
        .value_kind:     by_value
      - .address_space:  global
        .offset:         48
        .size:           8
        .value_kind:     global_buffer
      - .address_space:  global
        .offset:         56
        .size:           8
        .value_kind:     global_buffer
      - .address_space:  global
        .offset:         64
        .size:           8
        .value_kind:     global_buffer
      - .address_space:  global
        .offset:         72
        .size:           8
        .value_kind:     global_buffer
      - .offset:         80
        .size:           4
        .value_kind:     by_value
      - .address_space:  global
        .offset:         88
        .size:           8
        .value_kind:     global_buffer
      - .address_space:  global
        .offset:         96
        .size:           8
        .value_kind:     global_buffer
    .group_segment_fixed_size: 32448
    .kernarg_segment_align: 8
    .kernarg_segment_size: 104
    .language:       OpenCL C
    .language_version:
      - 2
      - 0
    .max_flat_workgroup_size: 156
    .name:           bluestein_single_back_len1014_dim1_dp_op_CI_CI
    .private_segment_fixed_size: 0
    .sgpr_count:     52
    .sgpr_spill_count: 0
    .symbol:         bluestein_single_back_len1014_dim1_dp_op_CI_CI.kd
    .uniform_work_group_size: 1
    .uses_dynamic_stack: false
    .vgpr_count:     294
    .vgpr_spill_count: 0
    .wavefront_size: 64
amdhsa.target:   amdgcn-amd-amdhsa--gfx950
amdhsa.version:
  - 1
  - 2
...

	.end_amdgpu_metadata
